;; amdgpu-corpus repo=ROCm/rocFFT kind=compiled arch=gfx906 opt=O3
	.text
	.amdgcn_target "amdgcn-amd-amdhsa--gfx906"
	.amdhsa_code_object_version 6
	.protected	bluestein_single_back_len918_dim1_half_op_CI_CI ; -- Begin function bluestein_single_back_len918_dim1_half_op_CI_CI
	.globl	bluestein_single_back_len918_dim1_half_op_CI_CI
	.p2align	8
	.type	bluestein_single_back_len918_dim1_half_op_CI_CI,@function
bluestein_single_back_len918_dim1_half_op_CI_CI: ; @bluestein_single_back_len918_dim1_half_op_CI_CI
; %bb.0:
	s_load_dwordx4 s[0:3], s[4:5], 0x28
	v_mul_u32_u24_e32 v1, 0x283, v0
	v_add_u32_sdwa v8, s6, v1 dst_sel:DWORD dst_unused:UNUSED_PAD src0_sel:DWORD src1_sel:WORD_1
	v_mov_b32_e32 v9, 0
	s_waitcnt lgkmcnt(0)
	v_cmp_gt_u64_e32 vcc, s[0:1], v[8:9]
	s_and_saveexec_b64 s[0:1], vcc
	s_cbranch_execz .LBB0_23
; %bb.1:
	s_load_dwordx2 s[6:7], s[4:5], 0x0
	s_load_dwordx2 s[12:13], s[4:5], 0x38
	s_movk_i32 s0, 0x66
	v_mul_lo_u16_sdwa v1, v1, s0 dst_sel:DWORD dst_unused:UNUSED_PAD src0_sel:WORD_1 src1_sel:DWORD
	v_sub_u16_e32 v32, v0, v1
	v_cmp_gt_u16_e64 s[0:1], 54, v32
	v_lshlrev_b32_e32 v31, 2, v32
	s_and_saveexec_b64 s[8:9], s[0:1]
	s_cbranch_execz .LBB0_3
; %bb.2:
	s_load_dwordx2 s[10:11], s[4:5], 0x18
	v_add_u32_e32 v13, 0x200, v31
	s_waitcnt lgkmcnt(0)
	s_load_dwordx4 s[16:19], s[10:11], 0x0
	s_waitcnt lgkmcnt(0)
	v_mad_u64_u32 v[0:1], s[10:11], s18, v8, 0
	v_mad_u64_u32 v[2:3], s[10:11], s16, v32, 0
	;; [unrolled: 1-line block ×4, first 2 shown]
	v_mov_b32_e32 v1, v4
	v_lshlrev_b64 v[0:1], 2, v[0:1]
	v_mov_b32_e32 v3, v5
	v_mov_b32_e32 v6, s3
	v_lshlrev_b64 v[2:3], 2, v[2:3]
	v_add_co_u32_e32 v0, vcc, s2, v0
	v_addc_co_u32_e32 v1, vcc, v6, v1, vcc
	v_add_co_u32_e32 v0, vcc, v0, v2
	s_mul_i32 s2, s17, 0xd8
	s_mul_hi_u32 s3, s16, 0xd8
	v_addc_co_u32_e32 v1, vcc, v1, v3, vcc
	s_add_i32 s2, s3, s2
	s_mul_i32 s3, s16, 0xd8
	v_mov_b32_e32 v3, s2
	v_add_co_u32_e32 v2, vcc, s3, v0
	v_addc_co_u32_e32 v3, vcc, v1, v3, vcc
	global_load_dword v4, v[0:1], off
	global_load_dword v5, v[2:3], off
	global_load_dword v6, v31, s[6:7]
	global_load_dword v7, v31, s[6:7] offset:216
	v_mov_b32_e32 v1, s2
	v_add_co_u32_e32 v0, vcc, s3, v2
	v_addc_co_u32_e32 v1, vcc, v3, v1, vcc
	global_load_dword v2, v[0:1], off
	global_load_dword v3, v31, s[6:7] offset:432
	v_mov_b32_e32 v9, s2
	v_add_co_u32_e32 v0, vcc, s3, v0
	v_addc_co_u32_e32 v1, vcc, v1, v9, vcc
	global_load_dword v9, v[0:1], off
	;; [unrolled: 5-line block ×3, first 2 shown]
	global_load_dword v12, v31, s[6:7] offset:864
	v_mov_b32_e32 v17, s2
	v_add_co_u32_e32 v0, vcc, s3, v0
	v_addc_co_u32_e32 v1, vcc, v1, v17, vcc
	global_load_dword v14, v31, s[6:7] offset:1080
	global_load_dword v15, v31, s[6:7] offset:1296
	;; [unrolled: 1-line block ×3, first 2 shown]
	global_load_dword v17, v[0:1], off
	v_mov_b32_e32 v18, s2
	v_add_co_u32_e32 v0, vcc, s3, v0
	v_addc_co_u32_e32 v1, vcc, v1, v18, vcc
	global_load_dword v18, v[0:1], off
	v_mov_b32_e32 v19, s2
	v_add_co_u32_e32 v0, vcc, s3, v0
	v_addc_co_u32_e32 v1, vcc, v1, v19, vcc
	;; [unrolled: 4-line block ×3, first 2 shown]
	v_mov_b32_e32 v25, s2
	v_mov_b32_e32 v26, s2
	;; [unrolled: 1-line block ×5, first 2 shown]
	s_waitcnt vmcnt(15)
	v_lshrrev_b32_e32 v21, 16, v4
	s_waitcnt vmcnt(13)
	v_mul_f16_sdwa v22, v6, v4 dst_sel:DWORD dst_unused:UNUSED_PAD src0_sel:WORD_1 src1_sel:DWORD
	v_mul_f16_sdwa v23, v6, v21 dst_sel:DWORD dst_unused:UNUSED_PAD src0_sel:WORD_1 src1_sel:DWORD
	v_fma_f16 v21, v6, v21, -v22
	v_lshrrev_b32_e32 v22, 16, v5
	s_waitcnt vmcnt(12)
	v_mul_f16_sdwa v24, v7, v5 dst_sel:DWORD dst_unused:UNUSED_PAD src0_sel:WORD_1 src1_sel:DWORD
	v_fma_f16 v4, v6, v4, v23
	v_mul_f16_sdwa v6, v7, v22 dst_sel:DWORD dst_unused:UNUSED_PAD src0_sel:WORD_1 src1_sel:DWORD
	v_fma_f16 v22, v7, v22, -v24
	s_waitcnt vmcnt(11)
	v_lshrrev_b32_e32 v23, 16, v2
	v_fma_f16 v5, v7, v5, v6
	s_waitcnt vmcnt(10)
	v_mul_f16_sdwa v24, v3, v2 dst_sel:DWORD dst_unused:UNUSED_PAD src0_sel:WORD_1 src1_sel:DWORD
	v_pack_b32_f16 v4, v4, v21
	v_mul_f16_sdwa v6, v3, v23 dst_sel:DWORD dst_unused:UNUSED_PAD src0_sel:WORD_1 src1_sel:DWORD
	s_waitcnt vmcnt(9)
	v_lshrrev_b32_e32 v21, 16, v9
	v_pack_b32_f16 v5, v5, v22
	v_fma_f16 v7, v3, v23, -v24
	v_fma_f16 v2, v3, v2, v6
	s_waitcnt vmcnt(8)
	v_mul_f16_sdwa v3, v10, v21 dst_sel:DWORD dst_unused:UNUSED_PAD src0_sel:WORD_1 src1_sel:DWORD
	ds_write2_b32 v31, v4, v5 offset1:54
	v_mul_f16_sdwa v23, v10, v9 dst_sel:DWORD dst_unused:UNUSED_PAD src0_sel:WORD_1 src1_sel:DWORD
	v_pack_b32_f16 v2, v2, v7
	v_fma_f16 v3, v10, v9, v3
	global_load_dword v7, v[0:1], off
	global_load_dword v9, v31, s[6:7] offset:1728
	v_fma_f16 v6, v10, v21, -v23
	v_mov_b32_e32 v10, s2
	v_add_co_u32_e32 v0, vcc, s3, v0
	s_waitcnt vmcnt(9)
	v_lshrrev_b32_e32 v21, 16, v11
	s_waitcnt vmcnt(8)
	v_mul_f16_sdwa v22, v12, v11 dst_sel:DWORD dst_unused:UNUSED_PAD src0_sel:WORD_1 src1_sel:DWORD
	v_addc_co_u32_e32 v1, vcc, v1, v10, vcc
	v_mul_f16_sdwa v4, v12, v21 dst_sel:DWORD dst_unused:UNUSED_PAD src0_sel:WORD_1 src1_sel:DWORD
	v_fma_f16 v5, v12, v21, -v22
	global_load_dword v10, v[0:1], off
	global_load_dword v21, v31, s[6:7] offset:1944
	v_add_co_u32_e32 v0, vcc, s3, v0
	v_addc_co_u32_e32 v1, vcc, v1, v20, vcc
	global_load_dword v20, v[0:1], off
	global_load_dword v23, v31, s[6:7] offset:2160
	v_mov_b32_e32 v22, s2
	v_add_co_u32_e32 v0, vcc, s3, v0
	v_addc_co_u32_e32 v1, vcc, v1, v22, vcc
	global_load_dword v22, v[0:1], off
	global_load_dword v24, v31, s[6:7] offset:2376
	v_add_co_u32_e32 v0, vcc, s3, v0
	v_addc_co_u32_e32 v1, vcc, v1, v25, vcc
	global_load_dword v25, v[0:1], off
	global_load_dword v27, v31, s[6:7] offset:2592
	;; [unrolled: 4-line block ×6, first 2 shown]
	s_waitcnt vmcnt(20)
	v_lshrrev_b32_e32 v35, 16, v17
	v_mul_f16_sdwa v0, v14, v17 dst_sel:DWORD dst_unused:UNUSED_PAD src0_sel:WORD_1 src1_sel:DWORD
	v_pack_b32_f16 v1, v3, v6
	v_fma_f16 v3, v12, v11, v4
	v_mul_f16_sdwa v4, v14, v35 dst_sel:DWORD dst_unused:UNUSED_PAD src0_sel:WORD_1 src1_sel:DWORD
	v_fma_f16 v0, v14, v35, -v0
	v_fma_f16 v4, v14, v17, v4
	v_pack_b32_f16 v3, v3, v5
	v_pack_b32_f16 v0, v4, v0
	ds_write2_b32 v13, v3, v0 offset0:88 offset1:142
	ds_write2_b32 v31, v2, v1 offset0:108 offset1:162
	s_waitcnt vmcnt(19)
	v_lshrrev_b32_e32 v0, 16, v18
	v_mul_f16_sdwa v1, v15, v0 dst_sel:DWORD dst_unused:UNUSED_PAD src0_sel:WORD_1 src1_sel:DWORD
	v_mul_f16_sdwa v2, v15, v18 dst_sel:DWORD dst_unused:UNUSED_PAD src0_sel:WORD_1 src1_sel:DWORD
	v_fma_f16 v1, v15, v18, v1
	v_fma_f16 v0, v15, v0, -v2
	v_pack_b32_f16 v0, v1, v0
	s_waitcnt vmcnt(18)
	v_lshrrev_b32_e32 v1, 16, v19
	v_mul_f16_sdwa v2, v16, v1 dst_sel:DWORD dst_unused:UNUSED_PAD src0_sel:WORD_1 src1_sel:DWORD
	v_mul_f16_sdwa v3, v16, v19 dst_sel:DWORD dst_unused:UNUSED_PAD src0_sel:WORD_1 src1_sel:DWORD
	v_fma_f16 v2, v16, v19, v2
	v_fma_f16 v1, v16, v1, -v3
	v_pack_b32_f16 v1, v2, v1
	v_add_u32_e32 v2, 0x400, v31
	ds_write2_b32 v2, v0, v1 offset0:68 offset1:122
	s_waitcnt vmcnt(17)
	v_lshrrev_b32_e32 v0, 16, v7
	s_waitcnt vmcnt(16)
	v_mul_f16_sdwa v1, v9, v0 dst_sel:DWORD dst_unused:UNUSED_PAD src0_sel:WORD_1 src1_sel:DWORD
	v_mul_f16_sdwa v3, v9, v7 dst_sel:DWORD dst_unused:UNUSED_PAD src0_sel:WORD_1 src1_sel:DWORD
	v_fma_f16 v1, v9, v7, v1
	v_fma_f16 v0, v9, v0, -v3
	v_pack_b32_f16 v0, v1, v0
	s_waitcnt vmcnt(15)
	v_lshrrev_b32_e32 v1, 16, v10
	s_waitcnt vmcnt(14)
	v_mul_f16_sdwa v3, v21, v1 dst_sel:DWORD dst_unused:UNUSED_PAD src0_sel:WORD_1 src1_sel:DWORD
	v_mul_f16_sdwa v4, v21, v10 dst_sel:DWORD dst_unused:UNUSED_PAD src0_sel:WORD_1 src1_sel:DWORD
	v_fma_f16 v3, v21, v10, v3
	v_fma_f16 v1, v21, v1, -v4
	v_pack_b32_f16 v1, v3, v1
	ds_write2_b32 v2, v0, v1 offset0:176 offset1:230
	s_waitcnt vmcnt(13)
	v_lshrrev_b32_e32 v0, 16, v20
	s_waitcnt vmcnt(12)
	v_mul_f16_sdwa v1, v23, v0 dst_sel:DWORD dst_unused:UNUSED_PAD src0_sel:WORD_1 src1_sel:DWORD
	v_mul_f16_sdwa v2, v23, v20 dst_sel:DWORD dst_unused:UNUSED_PAD src0_sel:WORD_1 src1_sel:DWORD
	v_fma_f16 v1, v23, v20, v1
	v_fma_f16 v0, v23, v0, -v2
	v_pack_b32_f16 v0, v1, v0
	s_waitcnt vmcnt(11)
	v_lshrrev_b32_e32 v1, 16, v22
	s_waitcnt vmcnt(10)
	v_mul_f16_sdwa v2, v24, v1 dst_sel:DWORD dst_unused:UNUSED_PAD src0_sel:WORD_1 src1_sel:DWORD
	v_mul_f16_sdwa v3, v24, v22 dst_sel:DWORD dst_unused:UNUSED_PAD src0_sel:WORD_1 src1_sel:DWORD
	v_fma_f16 v2, v24, v22, v2
	v_fma_f16 v1, v24, v1, -v3
	v_pack_b32_f16 v1, v2, v1
	v_add_u32_e32 v2, 0x800, v31
	ds_write2_b32 v2, v0, v1 offset0:28 offset1:82
	s_waitcnt vmcnt(9)
	v_lshrrev_b32_e32 v0, 16, v25
	s_waitcnt vmcnt(8)
	v_mul_f16_sdwa v1, v27, v0 dst_sel:DWORD dst_unused:UNUSED_PAD src0_sel:WORD_1 src1_sel:DWORD
	v_mul_f16_sdwa v3, v27, v25 dst_sel:DWORD dst_unused:UNUSED_PAD src0_sel:WORD_1 src1_sel:DWORD
	v_fma_f16 v1, v27, v25, v1
	v_fma_f16 v0, v27, v0, -v3
	v_pack_b32_f16 v0, v1, v0
	s_waitcnt vmcnt(7)
	v_lshrrev_b32_e32 v1, 16, v26
	s_waitcnt vmcnt(6)
	v_mul_f16_sdwa v3, v28, v1 dst_sel:DWORD dst_unused:UNUSED_PAD src0_sel:WORD_1 src1_sel:DWORD
	v_mul_f16_sdwa v4, v28, v26 dst_sel:DWORD dst_unused:UNUSED_PAD src0_sel:WORD_1 src1_sel:DWORD
	v_fma_f16 v3, v28, v26, v3
	v_fma_f16 v1, v28, v1, -v4
	v_pack_b32_f16 v1, v3, v1
	ds_write2_b32 v2, v0, v1 offset0:136 offset1:190
	s_waitcnt vmcnt(5)
	v_lshrrev_b32_e32 v0, 16, v29
	s_waitcnt vmcnt(4)
	v_mul_f16_sdwa v1, v33, v0 dst_sel:DWORD dst_unused:UNUSED_PAD src0_sel:WORD_1 src1_sel:DWORD
	v_mul_f16_sdwa v2, v33, v29 dst_sel:DWORD dst_unused:UNUSED_PAD src0_sel:WORD_1 src1_sel:DWORD
	v_fma_f16 v1, v33, v29, v1
	v_fma_f16 v0, v33, v0, -v2
	v_pack_b32_f16 v0, v1, v0
	s_waitcnt vmcnt(3)
	v_lshrrev_b32_e32 v1, 16, v30
	s_waitcnt vmcnt(2)
	v_mul_f16_sdwa v2, v34, v1 dst_sel:DWORD dst_unused:UNUSED_PAD src0_sel:WORD_1 src1_sel:DWORD
	v_mul_f16_sdwa v3, v34, v30 dst_sel:DWORD dst_unused:UNUSED_PAD src0_sel:WORD_1 src1_sel:DWORD
	v_fma_f16 v2, v34, v30, v2
	v_fma_f16 v1, v34, v1, -v3
	v_pack_b32_f16 v1, v2, v1
	v_add_u32_e32 v2, 0xa00, v31
	ds_write2_b32 v2, v0, v1 offset0:116 offset1:170
	s_waitcnt vmcnt(1)
	v_lshrrev_b32_e32 v0, 16, v36
	s_waitcnt vmcnt(0)
	v_mul_f16_sdwa v1, v37, v0 dst_sel:DWORD dst_unused:UNUSED_PAD src0_sel:WORD_1 src1_sel:DWORD
	v_mul_f16_sdwa v2, v37, v36 dst_sel:DWORD dst_unused:UNUSED_PAD src0_sel:WORD_1 src1_sel:DWORD
	v_fma_f16 v1, v37, v36, v1
	v_fma_f16 v0, v37, v0, -v2
	v_pack_b32_f16 v0, v1, v0
	ds_write_b32 v31, v0 offset:3456
.LBB0_3:
	s_or_b64 exec, exec, s[8:9]
	s_load_dwordx2 s[2:3], s[4:5], 0x20
	s_load_dwordx2 s[14:15], s[4:5], 0x8
	v_mov_b32_e32 v0, 0
	s_waitcnt lgkmcnt(0)
	s_barrier
	s_waitcnt lgkmcnt(0)
                                        ; implicit-def: $vgpr23
                                        ; implicit-def: $vgpr5
                                        ; implicit-def: $vgpr3
                                        ; implicit-def: $vgpr16
                                        ; implicit-def: $vgpr7
                                        ; implicit-def: $vgpr18
                                        ; implicit-def: $vgpr20
                                        ; implicit-def: $vgpr22
                                        ; implicit-def: $vgpr42
	s_and_saveexec_b64 s[4:5], s[0:1]
	s_cbranch_execz .LBB0_5
; %bb.4:
	v_add_u32_e32 v2, 0x200, v31
	ds_read2_b32 v[0:1], v31 offset1:54
	ds_read2_b32 v[21:22], v31 offset0:108 offset1:162
	ds_read2_b32 v[19:20], v2 offset0:88 offset1:142
	v_add_u32_e32 v2, 0x400, v31
	ds_read2_b32 v[17:18], v2 offset0:68 offset1:122
	ds_read2_b32 v[6:7], v2 offset0:176 offset1:230
	v_add_u32_e32 v2, 0x800, v31
	v_add_u32_e32 v4, 0xa00, v31
	ds_read2_b32 v[15:16], v2 offset0:28 offset1:82
	ds_read2_b32 v[2:3], v2 offset0:136 offset1:190
	;; [unrolled: 1-line block ×3, first 2 shown]
	ds_read_b32 v23, v31 offset:3456
	s_waitcnt lgkmcnt(7)
	v_alignbit_b32 v42, v21, v21, 16
.LBB0_5:
	s_or_b64 exec, exec, s[4:5]
	s_waitcnt lgkmcnt(0)
	v_pk_add_f16 v14, v1, v23 neg_lo:[0,1] neg_hi:[0,1]
	s_mov_b32 s9, 0xbbf7
	v_pk_add_f16 v45, v23, v1
	s_movk_i32 s4, 0x2de8
	v_mul_f16_sdwa v21, v14, s9 dst_sel:DWORD dst_unused:UNUSED_PAD src0_sel:WORD_1 src1_sel:DWORD
	s_mov_b32 s11, 0xb1e1
	v_pk_add_f16 v48, v5, v42 op_sel:[1,0] op_sel_hi:[0,1]
	v_pk_add_f16 v13, v42, v5 op_sel:[1,0] op_sel_hi:[0,1] neg_lo:[0,1] neg_hi:[0,1]
	v_fma_f16 v9, v45, s4, v21
	s_mov_b32 s8, 0xbbb2
	s_mov_b32 s10, 0xbbdd
	v_lshrrev_b32_e32 v49, 16, v48
	v_mul_f16_sdwa v24, v13, s11 dst_sel:DWORD dst_unused:UNUSED_PAD src0_sel:WORD_1 src1_sel:DWORD
	v_add_f16_e32 v9, v9, v0
	s_mov_b32 s5, 0xb461
	v_fma_f16 v10, v49, s10, v24
	v_mul_f16_sdwa v25, v14, s8 dst_sel:DWORD dst_unused:UNUSED_PAD src0_sel:WORD_1 src1_sel:DWORD
	s_movk_i32 s17, 0x3836
	v_add_f16_e32 v9, v10, v9
	v_fma_f16 v10, v45, s5, v25
	s_mov_b32 s16, 0xbacd
	v_mul_f16_sdwa v26, v13, s17 dst_sel:DWORD dst_unused:UNUSED_PAD src0_sel:WORD_1 src1_sel:DWORD
	s_movk_i32 s20, 0x3bb2
	v_pk_add_f16 v30, v22, v4 neg_lo:[0,1] neg_hi:[0,1]
	v_add_f16_e32 v10, v10, v0
	v_fma_f16 v11, v49, s16, v26
	v_pk_add_f16 v53, v4, v22
	v_mul_f16_sdwa v27, v30, s20 dst_sel:DWORD dst_unused:UNUSED_PAD src0_sel:WORD_1 src1_sel:DWORD
	s_movk_i32 s22, 0x3964
	v_add_f16_e32 v10, v11, v10
	v_fma_f16 v11, v53, s5, v27
	s_movk_i32 s17, 0x39e9
	v_mul_f16_sdwa v28, v30, s22 dst_sel:DWORD dst_unused:UNUSED_PAD src0_sel:WORD_1 src1_sel:DWORD
	s_movk_i32 s25, 0x35c8
	v_pk_add_f16 v33, v19, v3 neg_lo:[0,1] neg_hi:[0,1]
	v_add_f16_e32 v9, v11, v9
	v_fma_f16 v11, v53, s17, v28
	s_movk_i32 s18, 0x3b76
	v_pk_add_f16 v56, v3, v19
	v_mul_f16_sdwa v29, v33, s25 dst_sel:DWORD dst_unused:UNUSED_PAD src0_sel:WORD_1 src1_sel:DWORD
	s_mov_b32 s26, 0xbb29
	v_add_f16_e32 v10, v11, v10
	v_fma_f16 v11, v56, s18, v29
	s_movk_i32 s19, 0x3722
	v_mul_f16_sdwa v43, v33, s26 dst_sel:DWORD dst_unused:UNUSED_PAD src0_sel:WORD_1 src1_sel:DWORD
	v_pk_add_f16 v34, v20, v2 neg_lo:[0,1] neg_hi:[0,1]
	v_add_f16_e32 v9, v11, v9
	v_fma_f16 v11, v56, s19, v43
	v_pk_add_f16 v61, v2, v20
	v_mul_f16_sdwa v44, v34, s26 dst_sel:DWORD dst_unused:UNUSED_PAD src0_sel:WORD_1 src1_sel:DWORD
	v_add_f16_e32 v10, v11, v10
	v_fma_f16 v11, v61, s19, v44
	v_mul_f16_sdwa v46, v34, s11 dst_sel:DWORD dst_unused:UNUSED_PAD src0_sel:WORD_1 src1_sel:DWORD
	s_mov_b32 s21, 0xb836
	v_pk_add_f16 v35, v17, v16 neg_lo:[0,1] neg_hi:[0,1]
	v_add_f16_e32 v9, v11, v9
	v_fma_f16 v11, v61, s10, v46
	v_pk_add_f16 v69, v16, v17
	v_mul_f16_sdwa v47, v35, s21 dst_sel:DWORD dst_unused:UNUSED_PAD src0_sel:WORD_1 src1_sel:DWORD
	s_movk_i32 s23, 0x3bf7
	v_add_f16_e32 v10, v11, v10
	v_fma_f16 v11, v69, s16, v47
	v_mul_f16_sdwa v51, v35, s23 dst_sel:DWORD dst_unused:UNUSED_PAD src0_sel:WORD_1 src1_sel:DWORD
	s_movk_i32 s30, 0x3a62
	v_pk_add_f16 v36, v18, v15 neg_lo:[0,1] neg_hi:[0,1]
	v_add_f16_e32 v9, v11, v9
	v_fma_f16 v11, v69, s4, v51
	s_mov_b32 s24, 0xb8d2
	v_pk_add_f16 v67, v15, v18
	v_mul_f16_sdwa v52, v36, s30 dst_sel:DWORD dst_unused:UNUSED_PAD src0_sel:WORD_1 src1_sel:DWORD
	s_mov_b32 s27, 0xb5c8
	v_add_f16_e32 v10, v11, v10
	v_fma_f16 v11, v67, s24, v52
	v_mul_f16_sdwa v54, v36, s27 dst_sel:DWORD dst_unused:UNUSED_PAD src0_sel:WORD_1 src1_sel:DWORD
	v_pk_add_f16 v41, v6, v7 neg_lo:[0,1] neg_hi:[0,1]
	v_add_f16_e32 v9, v11, v9
	v_fma_f16 v11, v67, s18, v54
	s_mov_b32 s28, 0xba62
	v_pk_add_f16 v75, v7, v6
	v_mul_f16_sdwa v55, v41, s22 dst_sel:DWORD dst_unused:UNUSED_PAD src0_sel:WORD_1 src1_sel:DWORD
	v_add_f16_e32 v11, v11, v10
	v_fma_f16 v10, v75, s17, v55
	v_mul_f16_sdwa v59, v41, s28 dst_sel:DWORD dst_unused:UNUSED_PAD src0_sel:WORD_1 src1_sel:DWORD
	v_add_f16_e32 v10, v10, v9
	v_fma_f16 v9, v75, s24, v59
	;; [unrolled: 3-line block ×4, first 2 shown]
	v_mul_f16_sdwa v88, v14, s21 dst_sel:DWORD dst_unused:UNUSED_PAD src0_sel:WORD_1 src1_sel:DWORD
	s_movk_i32 s29, 0x3b29
	v_add_f16_e32 v11, v12, v11
	v_fma_f16 v12, v45, s16, v88
	v_mul_f16_sdwa v89, v13, s29 dst_sel:DWORD dst_unused:UNUSED_PAD src0_sel:WORD_1 src1_sel:DWORD
	v_add_f16_e32 v12, v12, v0
	v_fma_f16 v37, v49, s19, v89
	v_mul_f16_sdwa v74, v30, s27 dst_sel:DWORD dst_unused:UNUSED_PAD src0_sel:WORD_1 src1_sel:DWORD
	;; [unrolled: 3-line block ×7, first 2 shown]
	s_mov_b32 s30, 0xb964
	v_add_f16_e32 v11, v37, v11
	v_fma_f16 v37, v61, s18, v95
	v_mul_f16_sdwa v80, v35, s30 dst_sel:DWORD dst_unused:UNUSED_PAD src0_sel:WORD_1 src1_sel:DWORD
	v_add_f16_e32 v12, v37, v12
	v_fma_f16 v37, v69, s17, v80
	v_mul_f16_sdwa v96, v35, s11 dst_sel:DWORD dst_unused:UNUSED_PAD src0_sel:WORD_1 src1_sel:DWORD
	;; [unrolled: 3-line block ×8, first 2 shown]
	v_add_f16_e32 v37, v37, v0
	v_fma_f16 v38, v49, s17, v58
	v_lshrrev_b32_e32 v159, 16, v45
	v_mul_f16_e32 v60, 0xb964, v14
	v_add_f16_e32 v37, v38, v37
	v_fma_f16 v38, v159, s17, -v60
	v_mul_f16_e32 v62, 0xbbf7, v13
	v_add_f16_sdwa v38, v38, v0 dst_sel:DWORD dst_unused:UNUSED_PAD src0_sel:DWORD src1_sel:WORD_1
	v_fma_f16 v39, v48, s4, -v62
	v_mul_f16_sdwa v63, v14, s26 dst_sel:DWORD dst_unused:UNUSED_PAD src0_sel:WORD_1 src1_sel:DWORD
	v_add_f16_e32 v38, v39, v38
	v_fma_f16 v39, v45, s19, v63
	v_mul_f16_sdwa v64, v13, s28 dst_sel:DWORD dst_unused:UNUSED_PAD src0_sel:WORD_1 src1_sel:DWORD
	v_add_f16_e32 v39, v39, v0
	v_fma_f16 v40, v49, s24, v64
	v_mul_f16_e32 v70, 0xbb29, v14
	v_add_f16_e32 v39, v40, v39
	v_fma_f16 v40, v159, s19, -v70
	v_mul_f16_e32 v71, 0xba62, v13
	v_add_f16_sdwa v40, v40, v0 dst_sel:DWORD dst_unused:UNUSED_PAD src0_sel:DWORD src1_sel:WORD_1
	v_fma_f16 v50, v48, s24, -v71
	v_mul_f16_e32 v86, 0xbbf7, v14
	v_add_f16_e32 v40, v50, v40
	v_fma_f16 v50, v159, s4, -v86
	v_mul_f16_e32 v87, 0xb1e1, v13
	v_add_f16_sdwa v50, v50, v0 dst_sel:DWORD dst_unused:UNUSED_PAD src0_sel:DWORD src1_sel:WORD_1
	v_fma_f16 v65, v48, s10, -v87
	;; [unrolled: 6-line block ×5, first 2 shown]
	v_mul_f16_sdwa v132, v14, s11 dst_sel:DWORD dst_unused:UNUSED_PAD src0_sel:WORD_1 src1_sel:DWORD
	v_add_f16_e32 v82, v66, v65
	v_fma_f16 v65, v45, s10, v132
	v_mul_f16_sdwa v134, v13, s25 dst_sel:DWORD dst_unused:UNUSED_PAD src0_sel:WORD_1 src1_sel:DWORD
	v_add_f16_e32 v65, v65, v0
	v_fma_f16 v66, v49, s18, v134
	s_mov_b32 s25, 0x3b7639e9
	v_add_f16_e32 v91, v66, v65
	s_mov_b32 s30, 0xb964b5c8
	v_pk_mul_f16 v65, v45, s25
	v_mul_f16_e32 v150, 0xb1e1, v14
	v_pk_fma_f16 v66, v14, s30, v65 op_sel:[0,0,1] op_sel_hi:[1,1,0] neg_lo:[1,0,0] neg_hi:[1,0,0]
	v_pk_fma_f16 v68, v14, s30, v65 op_sel:[0,0,1] op_sel_hi:[1,1,0]
	v_fma_f16 v14, v159, s10, -v150
	v_mul_f16_e32 v151, 0x35c8, v13
	v_add_f16_sdwa v14, v14, v0 dst_sel:DWORD dst_unused:UNUSED_PAD src0_sel:DWORD src1_sel:WORD_1
	v_fma_f16 v65, v48, s18, -v151
	v_add_f16_e32 v14, v65, v14
	v_mul_f16_sdwa v65, v30, s26 dst_sel:DWORD dst_unused:UNUSED_PAD src0_sel:WORD_1 src1_sel:DWORD
	v_fma_f16 v76, v53, s19, v65
	v_add_f16_e32 v37, v76, v37
	v_lshrrev_b32_e32 v165, 16, v53
	v_mul_f16_e32 v76, 0xba62, v30
	v_fma_f16 v84, v165, s24, -v76
	s_movk_i32 s25, 0x31e1
	v_add_f16_e32 v38, v84, v38
	v_mul_f16_sdwa v84, v30, s25 dst_sel:DWORD dst_unused:UNUSED_PAD src0_sel:WORD_1 src1_sel:DWORD
	v_fma_f16 v93, v53, s10, v84
	v_add_f16_e32 v39, v93, v39
	v_mul_f16_e32 v93, 0x31e1, v30
	v_fma_f16 v94, v165, s10, -v93
	v_mul_f16_e32 v106, 0x3bb2, v30
	v_add_f16_e32 v40, v94, v40
	v_fma_f16 v94, v165, s5, -v106
	v_mul_f16_e32 v117, 0x3964, v30
	v_add_f16_e32 v50, v94, v50
	v_fma_f16 v94, v165, s17, -v117
	v_mul_f16_e32 v128, 0xb5c8, v30
	v_add_f16_e32 v94, v94, v78
	v_fma_f16 v78, v165, s18, -v128
	v_mul_f16_e32 v140, 0xbbf7, v30
	v_add_f16_e32 v97, v78, v81
	v_fma_f16 v78, v165, s4, -v140
	v_mul_f16_sdwa v144, v30, s21 dst_sel:DWORD dst_unused:UNUSED_PAD src0_sel:WORD_1 src1_sel:DWORD
	v_add_f16_e32 v98, v78, v82
	v_fma_f16 v78, v53, s16, v144
	s_mov_b32 s25, 0x3722b8d2
	v_add_f16_e32 v104, v78, v91
	s_mov_b32 s26, 0xba62bb29
	v_pk_mul_f16 v78, v53, s25
	v_mul_f16_e32 v157, 0xb836, v30
	v_pk_fma_f16 v81, v30, s26, v78 op_sel:[0,0,1] op_sel_hi:[1,1,0] neg_lo:[1,0,0] neg_hi:[1,0,0]
	v_pk_fma_f16 v82, v30, s26, v78 op_sel:[0,0,1] op_sel_hi:[1,1,0]
	v_fma_f16 v30, v165, s16, -v157
	v_mul_f16_sdwa v78, v33, s9 dst_sel:DWORD dst_unused:UNUSED_PAD src0_sel:WORD_1 src1_sel:DWORD
	v_add_f16_e32 v14, v30, v14
	v_fma_f16 v30, v56, s4, v78
	v_lshrrev_b32_e32 v169, 16, v56
	v_mul_f16_e32 v91, 0xb1e1, v33
	v_add_f16_e32 v30, v30, v37
	v_fma_f16 v37, v169, s10, -v91
	v_mul_f16_sdwa v100, v33, s20 dst_sel:DWORD dst_unused:UNUSED_PAD src0_sel:WORD_1 src1_sel:DWORD
	v_add_f16_e32 v37, v37, v38
	v_fma_f16 v38, v56, s5, v100
	v_mul_f16_e32 v105, 0x3bb2, v33
	v_add_f16_e32 v38, v38, v39
	v_fma_f16 v39, v169, s5, -v105
	v_mul_f16_e32 v115, 0x35c8, v33
	v_add_f16_e32 v39, v39, v40
	v_fma_f16 v40, v169, s18, -v115
	v_mul_f16_e32 v127, 0xbb29, v33
	v_add_f16_e32 v40, v40, v50
	v_fma_f16 v50, v169, s19, -v127
	v_mul_f16_e32 v139, 0xb836, v33
	v_add_f16_e32 v50, v50, v94
	v_fma_f16 v94, v169, s16, -v139
	v_mul_f16_e32 v149, 0x3a62, v33
	v_add_f16_e32 v107, v94, v97
	v_fma_f16 v94, v169, s24, -v149
	v_mul_f16_sdwa v153, v33, s22 dst_sel:DWORD dst_unused:UNUSED_PAD src0_sel:WORD_1 src1_sel:DWORD
	v_add_f16_e32 v108, v94, v98
	v_fma_f16 v94, v56, s17, v153
	s_mov_b32 s20, 0x2de8bbdd
	v_add_f16_e32 v109, v94, v104
	s_mov_b32 s25, 0xb1e1bbf7
	v_pk_mul_f16 v94, v56, s20
	v_mul_f16_e32 v161, 0x3964, v33
	v_pk_fma_f16 v97, v33, s25, v94 op_sel:[0,0,1] op_sel_hi:[1,1,0] neg_lo:[1,0,0] neg_hi:[1,0,0]
	v_pk_fma_f16 v98, v33, s25, v94 op_sel:[0,0,1] op_sel_hi:[1,1,0]
	v_fma_f16 v33, v169, s17, -v161
	v_mul_f16_sdwa v94, v34, s8 dst_sel:DWORD dst_unused:UNUSED_PAD src0_sel:WORD_1 src1_sel:DWORD
	v_add_f16_e32 v14, v33, v14
	v_fma_f16 v33, v61, s5, v94
	v_lshrrev_b32_e32 v172, 16, v61
	v_mul_f16_e32 v104, 0x3836, v34
	v_add_f16_e32 v30, v33, v30
	v_fma_f16 v33, v172, s16, -v104
	v_mul_f16_sdwa v110, v34, s22 dst_sel:DWORD dst_unused:UNUSED_PAD src0_sel:WORD_1 src1_sel:DWORD
	v_add_f16_e32 v33, v33, v37
	v_fma_f16 v37, v61, s17, v110
	v_mul_f16_e32 v114, 0x3964, v34
	v_add_f16_e32 v37, v37, v38
	v_fma_f16 v38, v172, s17, -v114
	v_mul_f16_e32 v125, 0xbb29, v34
	v_add_f16_e32 v38, v38, v39
	v_fma_f16 v39, v172, s19, -v125
	v_mul_f16_e32 v137, 0xb1e1, v34
	v_add_f16_e32 v39, v39, v40
	v_fma_f16 v40, v172, s10, -v137
	v_mul_f16_e32 v148, 0x3bf7, v34
	v_add_f16_e32 v40, v40, v50
	v_fma_f16 v50, v172, s4, -v148
	v_mul_f16_e32 v156, 0xb5c8, v34
	v_add_f16_e32 v50, v50, v107
	v_fma_f16 v107, v172, s18, -v156
	v_mul_f16_sdwa v160, v34, s28 dst_sel:DWORD dst_unused:UNUSED_PAD src0_sel:WORD_1 src1_sel:DWORD
	v_add_f16_e32 v116, v107, v108
	v_fma_f16 v107, v61, s24, v160
	s_mov_b32 s20, 0xb461bacd
	v_add_f16_e32 v118, v107, v109
	s_mov_b32 s22, 0x3836bbb2
	v_pk_mul_f16 v107, v61, s20
	v_mul_f16_e32 v167, 0xba62, v34
	v_pk_fma_f16 v108, v34, s22, v107 op_sel:[0,0,1] op_sel_hi:[1,1,0] neg_lo:[1,0,0] neg_hi:[1,0,0]
	v_pk_fma_f16 v109, v34, s22, v107 op_sel:[0,0,1] op_sel_hi:[1,1,0]
	v_fma_f16 v34, v172, s24, -v167
	v_mul_f16_sdwa v107, v35, s28 dst_sel:DWORD dst_unused:UNUSED_PAD src0_sel:WORD_1 src1_sel:DWORD
	v_add_f16_e32 v14, v34, v14
	v_fma_f16 v34, v69, s24, v107
	v_lshrrev_b32_e32 v175, 16, v69
	v_mul_f16_e32 v113, 0x3bb2, v35
	v_add_f16_e32 v30, v34, v30
	v_fma_f16 v34, v175, s5, -v113
	v_mul_f16_sdwa v120, v35, s27 dst_sel:DWORD dst_unused:UNUSED_PAD src0_sel:WORD_1 src1_sel:DWORD
	v_add_f16_e32 v33, v34, v33
	v_fma_f16 v34, v69, s18, v120
	v_mul_f16_e32 v124, 0xb5c8, v35
	v_add_f16_e32 v34, v34, v37
	v_fma_f16 v37, v175, s18, -v124
	v_mul_f16_e32 v136, 0xb836, v35
	v_add_f16_e32 v37, v37, v38
	v_fma_f16 v38, v175, s16, -v136
	v_mul_f16_e32 v146, 0x3bf7, v35
	v_add_f16_e32 v38, v38, v39
	v_fma_f16 v39, v175, s4, -v146
	v_mul_f16_e32 v155, 0xb964, v35
	v_add_f16_e32 v39, v39, v40
	v_fma_f16 v40, v175, s17, -v155
	v_mul_f16_e32 v163, 0xb1e1, v35
	v_add_f16_e32 v40, v40, v50
	v_fma_f16 v50, v175, s10, -v163
	v_mul_f16_sdwa v166, v35, s29 dst_sel:DWORD dst_unused:UNUSED_PAD src0_sel:WORD_1 src1_sel:DWORD
	v_add_f16_e32 v50, v50, v116
	v_fma_f16 v116, v69, s19, v166
	s_mov_b32 s20, 0xb8d2b461
	v_add_f16_e32 v126, v116, v118
	s_mov_b32 s22, 0x3bb2ba62
	v_pk_mul_f16 v116, v69, s20
	v_mul_f16_e32 v173, 0x3b29, v35
	v_pk_fma_f16 v118, v35, s22, v116 op_sel:[0,0,1] op_sel_hi:[1,1,0] neg_lo:[1,0,0] neg_hi:[1,0,0]
	v_pk_fma_f16 v119, v35, s22, v116 op_sel:[0,0,1] op_sel_hi:[1,1,0]
	v_fma_f16 v35, v175, s19, -v173
	v_mul_f16_sdwa v116, v36, s21 dst_sel:DWORD dst_unused:UNUSED_PAD src0_sel:WORD_1 src1_sel:DWORD
	v_add_f16_e32 v14, v35, v14
	v_fma_f16 v35, v67, s16, v116
	v_lshrrev_b32_e32 v174, 16, v67
	v_mul_f16_e32 v122, 0x3b29, v36
	v_add_f16_e32 v30, v35, v30
	v_fma_f16 v35, v174, s19, -v122
	v_mul_f16_sdwa v131, v36, s9 dst_sel:DWORD dst_unused:UNUSED_PAD src0_sel:WORD_1 src1_sel:DWORD
	v_add_f16_e32 v33, v35, v33
	v_fma_f16 v35, v67, s4, v131
	v_mul_f16_e32 v135, 0xbbf7, v36
	v_add_f16_e32 v35, v35, v34
	v_fma_f16 v34, v174, s4, -v135
	v_mul_f16_e32 v145, 0x3a62, v36
	v_add_f16_e32 v37, v34, v37
	v_fma_f16 v34, v174, s24, -v145
	v_mul_f16_e32 v154, 0xb5c8, v36
	v_add_f16_e32 v38, v34, v38
	;; [unrolled: 3-line block ×4, first 2 shown]
	v_fma_f16 v34, v174, s17, -v168
	v_mul_f16_sdwa v171, v36, s8 dst_sel:DWORD dst_unused:UNUSED_PAD src0_sel:WORD_1 src1_sel:DWORD
	v_add_f16_e32 v50, v34, v50
	v_fma_f16 v34, v67, s5, v171
	s_mov_b32 s8, 0xbacd3722
	v_add_f16_e32 v180, v34, v126
	s_mov_b32 s9, 0x3b29b836
	v_pk_mul_f16 v34, v67, s8
	v_pk_fma_f16 v129, v36, s9, v34 op_sel:[0,0,1] op_sel_hi:[1,1,0] neg_lo:[1,0,0] neg_hi:[1,0,0]
	v_pk_fma_f16 v130, v36, s9, v34 op_sel:[0,0,1] op_sel_hi:[1,1,0]
	v_mul_f16_e32 v178, 0xbbb2, v36
	s_mov_b32 s9, 0xbbf7b964
	v_fma_f16 v34, v174, s5, -v178
	v_mul_f16_sdwa v126, v41, s11 dst_sel:DWORD dst_unused:UNUSED_PAD src0_sel:WORD_1 src1_sel:DWORD
	s_mov_b32 s8, 0x2de839e9
	v_pk_mul_f16 v182, v13, s9
	v_add_f16_e32 v181, v34, v14
	v_fma_f16 v14, v75, s10, v126
	v_pk_fma_f16 v133, v48, s8, v182
	v_add_f16_sdwa v13, v68, v0 dst_sel:DWORD dst_unused:UNUSED_PAD src0_sel:WORD_1 src1_sel:DWORD
	v_lshrrev_b32_e32 v177, 16, v75
	v_mul_f16_e32 v141, 0x35c8, v41
	v_add_f16_e32 v34, v14, v30
	v_add_f16_sdwa v13, v133, v13 dst_sel:DWORD dst_unused:UNUSED_PAD src0_sel:WORD_1 src1_sel:DWORD
	v_fma_f16 v30, v177, s18, -v141
	v_mul_f16_e32 v152, 0xb836, v41
	v_add_f16_sdwa v13, v82, v13 dst_sel:DWORD dst_unused:UNUSED_PAD src0_sel:WORD_1 src1_sel:DWORD
	v_add_f16_e32 v36, v30, v33
	v_fma_f16 v30, v177, s16, -v152
	v_mul_f16_e32 v158, 0x3964, v41
	v_add_f16_sdwa v13, v98, v13 dst_sel:DWORD dst_unused:UNUSED_PAD src0_sel:WORD_1 src1_sel:DWORD
	v_add_f16_e32 v37, v30, v37
	;; [unrolled: 4-line block ×3, first 2 shown]
	v_fma_f16 v30, v177, s24, -v164
	v_mul_f16_e32 v170, 0x3b29, v41
	v_add_f16_sdwa v13, v119, v13 dst_sel:DWORD dst_unused:UNUSED_PAD src0_sel:WORD_1 src1_sel:DWORD
	v_mul_f16_sdwa v142, v41, s21 dst_sel:DWORD dst_unused:UNUSED_PAD src0_sel:WORD_1 src1_sel:DWORD
	v_add_f16_e32 v40, v30, v143
	v_fma_f16 v30, v177, s19, -v170
	v_mul_f16_e32 v176, 0xbbb2, v41
	v_add_f16_sdwa v14, v130, v13 dst_sel:DWORD dst_unused:UNUSED_PAD src0_sel:WORD_1 src1_sel:DWORD
	v_fma_f16 v13, v75, s16, v142
	v_add_f16_e32 v38, v30, v147
	v_fma_f16 v30, v177, s5, -v176
	v_mul_f16_sdwa v179, v41, s23 dst_sel:DWORD dst_unused:UNUSED_PAD src0_sel:WORD_1 src1_sel:DWORD
	v_add_f16_e32 v13, v13, v35
	v_add_f16_e32 v35, v30, v50
	v_fma_f16 v30, v75, s4, v179
	v_add_f16_e32 v30, v30, v180
	v_mul_f16_e32 v180, 0x3bf7, v41
	v_fma_f16 v33, v177, s4, -v180
	v_add_f16_e32 v50, v33, v181
	v_pk_fma_f16 v147, v48, s8, v182 neg_lo:[0,0,1] neg_hi:[0,0,1]
	v_add_f16_sdwa v33, v66, v0 dst_sel:DWORD dst_unused:UNUSED_PAD src0_sel:DWORD src1_sel:WORD_1
	v_add_f16_e32 v33, v147, v33
	v_add_f16_e32 v33, v81, v33
	;; [unrolled: 1-line block ×3, first 2 shown]
	s_mov_b32 s9, 0xbbdd3b76
	v_add_f16_e32 v33, v108, v33
	s_mov_b32 s10, 0x35c8b1e1
	v_pk_mul_f16 v183, v75, s9
	v_add_f16_e32 v33, v118, v33
	v_pk_fma_f16 v138, v41, s10, v183 op_sel:[0,0,1] op_sel_hi:[1,1,0]
	v_pk_fma_f16 v143, v41, s10, v183 op_sel:[0,0,1] op_sel_hi:[1,1,0] neg_lo:[1,0,0] neg_hi:[1,0,0]
	v_add_f16_e32 v33, v129, v33
	v_add_f16_sdwa v14, v138, v14 dst_sel:DWORD dst_unused:UNUSED_PAD src0_sel:WORD_1 src1_sel:DWORD
	v_add_f16_e32 v41, v143, v33
	v_mul_lo_u16_e32 v33, 17, v32
	s_barrier
	s_and_saveexec_b64 s[4:5], s[0:1]
	s_cbranch_execz .LBB0_7
; %bb.6:
	v_mul_f16_e32 v186, 0x2de8, v45
	v_mul_f16_e32 v188, 0xb461, v45
	;; [unrolled: 1-line block ×3, first 2 shown]
	v_sub_f16_e32 v21, v186, v21
	v_mul_f16_e32 v183, 0x39e9, v159
	v_mul_f16_e32 v185, 0x3722, v159
	;; [unrolled: 1-line block ×9, first 2 shown]
	v_sub_f16_e32 v25, v188, v25
	v_add_f16_e32 v21, v21, v0
	v_sub_f16_e32 v24, v198, v24
	v_mul_f16_e32 v195, 0x2de8, v48
	v_mul_f16_e32 v197, 0xb8d2, v48
	;; [unrolled: 1-line block ×9, first 2 shown]
	v_add_f16_e32 v150, v150, v159
	v_add_f16_e32 v25, v25, v0
	v_sub_f16_e32 v26, v200, v26
	v_add_f16_e32 v21, v24, v21
	v_sub_f16_e32 v24, v210, v27
	v_mul_f16_e32 v182, 0x3b76, v45
	v_mul_f16_e32 v184, 0x3722, v45
	;; [unrolled: 1-line block ×14, first 2 shown]
	v_add_f16_e32 v48, v151, v48
	v_add_f16_sdwa v150, v150, v0 dst_sel:DWORD dst_unused:UNUSED_PAD src0_sel:DWORD src1_sel:WORD_1
	v_add_f16_e32 v25, v26, v25
	v_sub_f16_e32 v26, v212, v28
	v_add_f16_e32 v21, v24, v21
	v_sub_f16_e32 v24, v222, v29
	v_mul_f16_e32 v194, 0x39e9, v49
	v_mul_f16_e32 v196, 0xb8d2, v49
	v_mul_f16_e32 v202, 0xb461, v49
	v_mul_f16_e32 v204, 0x3722, v49
	v_mul_f16_e32 v49, 0x3b76, v49
	v_mul_f16_e32 v219, 0xbbdd, v169
	v_mul_f16_e32 v221, 0xb461, v169
	v_mul_f16_e32 v223, 0x3b76, v169
	v_mul_f16_e32 v225, 0x3722, v169
	v_mul_f16_e32 v227, 0xbacd, v169
	v_mul_f16_e32 v229, 0xb8d2, v169
	v_mul_f16_e32 v169, 0x39e9, v169
	v_mul_f16_e32 v236, 0xbbdd, v61
	v_mul_f16_e32 v246, 0xbacd, v69
	v_add_f16_e32 v48, v48, v150
	v_add_f16_e32 v157, v157, v165
	v_sub_f16_e32 v45, v45, v132
	v_add_f16_e32 v25, v26, v25
	v_sub_f16_e32 v26, v224, v43
	v_add_f16_e32 v21, v24, v21
	v_sub_f16_e32 v24, v234, v44
	v_mul_f16_e32 v206, 0x3722, v53
	v_mul_f16_e32 v208, 0xbbdd, v53
	;; [unrolled: 1-line block ×6, first 2 shown]
	v_add_f16_e32 v48, v157, v48
	v_mul_f16_e32 v157, 0xb8d2, v67
	v_add_f16_e32 v161, v161, v169
	v_sub_f16_e32 v49, v49, v134
	v_add_f16_e32 v45, v45, v0
	v_add_f16_e32 v25, v26, v25
	v_sub_f16_e32 v26, v236, v46
	v_add_f16_e32 v21, v24, v21
	v_sub_f16_e32 v24, v246, v47
	v_add_f16_e32 v48, v161, v48
	v_mul_f16_e32 v161, 0x3b76, v67
	v_add_f16_e32 v45, v49, v45
	v_mul_f16_e32 v49, 0x39e9, v75
	v_sub_f16_e32 v53, v53, v144
	v_add_f16_e32 v25, v26, v25
	v_sub_f16_e32 v26, v248, v51
	v_add_f16_e32 v21, v24, v21
	;; [unrolled: 2-line block ×3, first 2 shown]
	v_mul_f16_e32 v53, 0xb8d2, v75
	v_add_f16_e32 v25, v26, v25
	v_sub_f16_e32 v26, v161, v54
	v_add_f16_e32 v21, v24, v21
	v_sub_f16_e32 v24, v49, v55
	v_mul_f16_e32 v231, 0xbacd, v172
	v_mul_f16_e32 v233, 0x39e9, v172
	;; [unrolled: 1-line block ×7, first 2 shown]
	v_add_f16_e32 v25, v26, v25
	v_sub_f16_e32 v26, v53, v59
	v_add_f16_e32 v21, v24, v21
	v_add_f16_e32 v24, v70, v185
	v_mul_f16_e32 v243, 0xb461, v175
	v_mul_f16_e32 v245, 0x3b76, v175
	;; [unrolled: 1-line block ×7, first 2 shown]
	v_add_f16_e32 v167, v167, v172
	v_add_f16_e32 v25, v26, v25
	v_add_f16_e32 v26, v86, v187
	v_add_f16_sdwa v24, v24, v0 dst_sel:DWORD dst_unused:UNUSED_PAD src0_sel:DWORD src1_sel:WORD_1
	v_add_f16_e32 v27, v71, v197
	v_mul_f16_e32 v218, 0x2de8, v56
	v_mul_f16_e32 v220, 0xb461, v56
	;; [unrolled: 1-line block ×5, first 2 shown]
	v_add_f16_e32 v48, v167, v48
	v_add_f16_e32 v173, v173, v175
	v_add_f16_sdwa v26, v26, v0 dst_sel:DWORD dst_unused:UNUSED_PAD src0_sel:DWORD src1_sel:WORD_1
	v_add_f16_e32 v28, v87, v199
	v_add_f16_e32 v24, v27, v24
	;; [unrolled: 1-line block ×3, first 2 shown]
	v_mul_f16_e32 v230, 0xb461, v61
	v_mul_f16_e32 v232, 0x39e9, v61
	;; [unrolled: 1-line block ×5, first 2 shown]
	v_add_f16_e32 v48, v173, v48
	v_mul_f16_e32 v173, 0xb461, v174
	v_sub_f16_e32 v56, v56, v153
	v_add_f16_e32 v26, v28, v26
	v_add_f16_e32 v28, v106, v211
	;; [unrolled: 1-line block ×4, first 2 shown]
	v_mul_f16_e32 v242, 0xb8d2, v69
	v_mul_f16_e32 v244, 0x3b76, v69
	;; [unrolled: 1-line block ×5, first 2 shown]
	v_add_f16_e32 v173, v178, v173
	v_add_f16_e32 v45, v56, v45
	v_sub_f16_e32 v61, v61, v160
	v_add_f16_e32 v26, v28, v26
	v_add_f16_e32 v28, v115, v223
	;; [unrolled: 1-line block ×4, first 2 shown]
	v_mul_f16_e32 v159, 0xbacd, v67
	v_mul_f16_e32 v150, 0x2de8, v67
	;; [unrolled: 1-line block ×6, first 2 shown]
	v_add_f16_e32 v48, v173, v48
	v_mul_f16_e32 v173, 0x2de8, v177
	v_add_f16_e32 v45, v61, v45
	v_sub_f16_e32 v69, v69, v166
	v_add_f16_e32 v26, v28, v26
	v_add_f16_e32 v28, v125, v235
	;; [unrolled: 1-line block ×4, first 2 shown]
	v_mul_f16_e32 v169, 0xb8d2, v174
	v_add_f16_e32 v173, v180, v173
	v_mul_f16_e32 v180, 0xbbdd, v75
	v_mul_f16_e32 v132, 0xbacd, v75
	v_mul_f16_e32 v134, 0xbacd, v177
	v_mul_f16_e32 v56, 0x3722, v75
	v_mul_f16_e32 v61, 0xb461, v75
	v_mul_f16_e32 v75, 0x2de8, v75
	v_add_f16_e32 v45, v69, v45
	v_sub_f16_e32 v67, v67, v171
	v_add_f16_e32 v26, v28, v26
	v_add_f16_e32 v28, v136, v247
	;; [unrolled: 1-line block ×4, first 2 shown]
	v_mul_f16_e32 v144, 0x39e9, v177
	v_add_f16_e32 v45, v67, v45
	v_sub_f16_e32 v67, v75, v179
	v_add_f16_e32 v26, v28, v26
	v_add_f16_e32 v28, v145, v169
	;; [unrolled: 1-line block ×4, first 2 shown]
	v_alignbit_b32 v181, v0, v0, 16
	v_add_f16_e32 v45, v67, v45
	v_add_f16_e32 v67, v121, v193
	;; [unrolled: 1-line block ×5, first 2 shown]
	v_sub_f16_e32 v27, v184, v63
	v_alignbit_b32 v42, v42, v42, 16
	v_add_f16_sdwa v67, v67, v0 dst_sel:DWORD dst_unused:UNUSED_PAD src0_sel:DWORD src1_sel:WORD_1
	v_add_f16_e32 v69, v123, v205
	v_add_f16_e32 v26, v28, v26
	;; [unrolled: 1-line block ×3, first 2 shown]
	v_sub_f16_e32 v28, v196, v64
	v_pk_add_f16 v1, v1, v181 op_sel:[0,1] op_sel_hi:[1,0]
	v_add_f16_e32 v67, v69, v67
	v_add_f16_e32 v69, v140, v217
	v_add_f16_e32 v27, v28, v27
	v_sub_f16_e32 v28, v208, v84
	v_pk_add_f16 v1, v42, v1
	v_add_f16_e32 v67, v69, v67
	v_add_f16_e32 v69, v149, v229
	v_add_f16_e32 v27, v28, v27
	v_sub_f16_e32 v28, v220, v100
	v_pk_add_f16 v1, v22, v1
	;; [unrolled: 5-line block ×3, first 2 shown]
	v_mul_f16_e32 v151, 0x3722, v174
	v_mul_f16_e32 v172, 0x3b76, v174
	;; [unrolled: 1-line block ×4, first 2 shown]
	v_add_f16_e32 v67, v69, v67
	v_add_f16_e32 v69, v163, v253
	;; [unrolled: 1-line block ×3, first 2 shown]
	v_sub_f16_e32 v28, v244, v120
	v_pk_add_f16 v1, v20, v1
	v_add_f16_e32 v48, v173, v48
	v_mul_f16_e32 v173, 0x3b76, v177
	v_mul_f16_e32 v153, 0xb8d2, v177
	;; [unrolled: 1-line block ×4, first 2 shown]
	v_add_f16_e32 v67, v69, v67
	v_add_f16_e32 v69, v168, v174
	;; [unrolled: 1-line block ×3, first 2 shown]
	v_sub_f16_e32 v28, v150, v131
	v_pk_add_f16 v1, v17, v1
	v_add_f16_e32 v67, v69, v67
	v_add_f16_e32 v69, v176, v177
	;; [unrolled: 1-line block ×3, first 2 shown]
	v_sub_f16_e32 v28, v132, v142
	v_pk_add_f16 v1, v18, v1
	v_add_f16_e32 v67, v69, v67
	v_sub_f16_e32 v69, v192, v88
	v_sub_f16_e32 v72, v190, v72
	v_add_f16_e32 v27, v28, v27
	v_add_f16_e32 v28, v60, v183
	v_pk_add_f16 v1, v6, v1
	v_add_f16_e32 v69, v69, v0
	v_sub_f16_e32 v75, v204, v89
	v_add_f16_e32 v72, v72, v0
	v_sub_f16_e32 v73, v202, v73
	v_add_f16_sdwa v28, v28, v0 dst_sel:DWORD dst_unused:UNUSED_PAD src0_sel:DWORD src1_sel:WORD_1
	v_add_f16_e32 v29, v62, v195
	v_pk_add_f16 v1, v7, v1
	v_add_f16_e32 v69, v75, v69
	v_sub_f16_e32 v75, v216, v90
	v_add_f16_e32 v72, v73, v72
	v_sub_f16_e32 v73, v214, v74
	v_add_f16_e32 v28, v29, v28
	v_add_f16_e32 v29, v76, v207
	v_pk_add_f16 v1, v15, v1
	v_add_f16_e32 v69, v75, v69
	v_sub_f16_e32 v75, v228, v92
	v_add_f16_e32 v72, v73, v72
	v_sub_f16_e32 v73, v226, v77
	v_add_f16_e32 v28, v29, v28
	v_add_f16_e32 v29, v91, v219
	v_pk_add_f16 v1, v16, v1
	v_add_f16_e32 v69, v75, v69
	v_sub_f16_e32 v75, v240, v95
	v_add_f16_e32 v72, v73, v72
	v_sub_f16_e32 v73, v238, v79
	v_add_f16_e32 v28, v29, v28
	v_add_f16_e32 v29, v104, v231
	v_pk_add_f16 v1, v2, v1
	v_add_f16_e32 v69, v75, v69
	v_sub_f16_e32 v75, v252, v96
	v_add_f16_e32 v72, v73, v72
	v_sub_f16_e32 v73, v250, v80
	v_add_f16_e32 v28, v29, v28
	v_add_f16_e32 v29, v113, v243
	v_pk_add_f16 v1, v3, v1
	v_add_f16_e32 v69, v75, v69
	v_sub_f16_e32 v75, v178, v99
	v_add_f16_e32 v72, v73, v72
	v_sub_f16_e32 v73, v167, v83
	v_add_f16_e32 v28, v29, v28
	v_add_f16_e32 v29, v122, v151
	v_pk_add_f16 v1, v4, v1
	v_add_f16_e32 v69, v75, v69
	v_sub_f16_e32 v61, v61, v101
	v_add_f16_e32 v72, v73, v72
	v_sub_f16_e32 v56, v56, v85
	v_add_f16_e32 v28, v29, v28
	v_add_f16_e32 v29, v141, v173
	s_mov_b32 s8, 0xffff
	v_pk_add_f16 v1, v5, v1
	v_add_f16_e32 v61, v61, v69
	v_add_f16_e32 v69, v111, v191
	v_add_f16_e32 v56, v56, v72
	v_add_f16_e32 v72, v102, v189
	v_add_f16_e32 v28, v29, v28
	v_bfi_b32 v29, s8, v68, v66
	v_sub_f16_e32 v53, v182, v57
	v_lshlrev_b32_e32 v19, 2, v33
	v_pk_add_f16 v1, v23, v1
	v_add_f16_sdwa v69, v69, v0 dst_sel:DWORD dst_unused:UNUSED_PAD src0_sel:DWORD src1_sel:WORD_1
	v_add_f16_sdwa v72, v72, v0 dst_sel:DWORD dst_unused:UNUSED_PAD src0_sel:DWORD src1_sel:WORD_1
	v_bfi_b32 v43, s8, v133, v147
	v_add_f16_e32 v0, v53, v0
	v_sub_f16_e32 v53, v194, v58
	ds_write_b32 v19, v1
	v_pk_add_f16 v1, v29, v181
	v_bfi_b32 v44, s8, v82, v81
	v_add_f16_e32 v0, v53, v0
	v_sub_f16_e32 v53, v206, v65
	v_pk_add_f16 v1, v43, v1
	v_add_f16_e32 v75, v112, v203
	v_add_f16_e32 v73, v103, v201
	v_bfi_b32 v46, s8, v98, v97
	v_add_f16_e32 v0, v53, v0
	v_sub_f16_e32 v53, v218, v78
	v_pk_add_f16 v1, v44, v1
	v_add_f16_e32 v69, v75, v69
	v_add_f16_e32 v75, v128, v215
	v_add_f16_e32 v72, v73, v72
	v_add_f16_e32 v73, v117, v213
	v_bfi_b32 v47, s8, v109, v108
	v_add_f16_e32 v0, v53, v0
	v_sub_f16_e32 v53, v230, v94
	v_pk_add_f16 v1, v46, v1
	v_add_f16_e32 v69, v75, v69
	v_add_f16_e32 v75, v139, v227
	;; [unrolled: 8-line block ×5, first 2 shown]
	v_add_f16_e32 v72, v73, v72
	v_add_f16_e32 v73, v154, v172
	v_add_f16_e32 v0, v53, v0
	v_pk_add_f16 v1, v52, v1
	v_add_f16_e32 v69, v75, v69
	v_add_f16_e32 v75, v170, v160
	v_add_f16_e32 v72, v73, v72
	v_add_f16_e32 v73, v164, v153
	v_alignbit_b32 v2, v28, v1, 16
	v_pack_b32_f16 v0, v0, v1
	v_add_f16_e32 v69, v75, v69
	v_add_f16_e32 v72, v73, v72
	ds_write2_b32 v19, v0, v2 offset0:1 offset1:2
	v_pack_b32_f16 v0, v21, v26
	v_pack_b32_f16 v1, v27, v24
	ds_write2_b32 v19, v1, v0 offset0:3 offset1:4
	v_pack_b32_f16 v0, v56, v69
	v_pack_b32_f16 v1, v25, v72
	ds_write2_b32 v19, v1, v0 offset0:5 offset1:6
	v_pack_b32_f16 v0, v45, v48
	v_pack_b32_f16 v1, v61, v67
	s_mov_b32 s8, 0x5040100
	ds_write2_b32 v19, v1, v0 offset0:7 offset1:8
	v_perm_b32 v0, v35, v11, s8
	v_perm_b32 v1, v50, v30, s8
	ds_write2_b32 v19, v1, v0 offset0:9 offset1:10
	v_perm_b32 v0, v40, v9, s8
	v_perm_b32 v1, v38, v12, s8
	;; [unrolled: 3-line block ×4, first 2 shown]
	ds_write2_b32 v19, v1, v0 offset0:15 offset1:16
.LBB0_7:
	s_or_b64 exec, exec, s[4:5]
	s_load_dwordx4 s[8:11], s[2:3], 0x0
	s_movk_i32 s2, 0xf1
	v_mul_lo_u16_sdwa v0, v32, s2 dst_sel:DWORD dst_unused:UNUSED_PAD src0_sel:BYTE_0 src1_sel:DWORD
	v_lshrrev_b16_e32 v24, 12, v0
	v_mul_lo_u16_e32 v0, 17, v24
	v_sub_u16_e32 v0, v32, v0
	v_and_b32_e32 v27, 0xff, v0
	v_lshlrev_b32_e32 v15, 5, v27
	s_waitcnt lgkmcnt(0)
	s_barrier
	global_load_dwordx4 v[0:3], v15, s[14:15]
	global_load_dwordx4 v[4:7], v15, s[14:15] offset:16
	ds_read2_b32 v[15:16], v31 offset1:102
	v_add_u32_e32 v28, 0x200, v31
	ds_read_b32 v25, v31 offset:3264
	v_add_u32_e32 v23, 0x400, v31
	v_add_u32_e32 v29, 0x800, v31
	ds_read2_b32 v[17:18], v28 offset0:76 offset1:178
	ds_read2_b32 v[19:20], v23 offset0:152 offset1:254
	;; [unrolled: 1-line block ×3, first 2 shown]
	s_waitcnt lgkmcnt(4)
	v_lshrrev_b32_e32 v26, 16, v16
	s_waitcnt lgkmcnt(3)
	v_lshrrev_b32_e32 v43, 16, v25
	;; [unrolled: 2-line block ×3, first 2 shown]
	v_lshrrev_b32_e32 v45, 16, v18
	s_waitcnt lgkmcnt(0)
	v_lshrrev_b32_e32 v49, 16, v22
	v_lshrrev_b32_e32 v48, 16, v21
	;; [unrolled: 1-line block ×4, first 2 shown]
	s_movk_i32 s2, 0x3be1
	s_movk_i32 s5, 0x3a21
	v_lshrrev_b32_e32 v42, 16, v15
	s_movk_i32 s3, 0x3aee
	s_movk_i32 s16, 0x318f
	;; [unrolled: 1-line block ×3, first 2 shown]
	s_mov_b32 s17, 0xbb84
	s_mov_b32 s18, 0xb924
	s_waitcnt vmcnt(0)
	s_barrier
	v_mul_f16_sdwa v51, v26, v0 dst_sel:DWORD dst_unused:UNUSED_PAD src0_sel:DWORD src1_sel:WORD_1
	v_mul_f16_sdwa v52, v16, v0 dst_sel:DWORD dst_unused:UNUSED_PAD src0_sel:DWORD src1_sel:WORD_1
	;; [unrolled: 1-line block ×8, first 2 shown]
	v_fma_f16 v16, v16, v0, -v51
	v_fma_f16 v26, v26, v0, v52
	v_fma_f16 v25, v25, v7, -v65
	v_fma_f16 v43, v43, v7, v66
	v_mul_f16_sdwa v55, v45, v2 dst_sel:DWORD dst_unused:UNUSED_PAD src0_sel:DWORD src1_sel:WORD_1
	v_mul_f16_sdwa v56, v18, v2 dst_sel:DWORD dst_unused:UNUSED_PAD src0_sel:DWORD src1_sel:WORD_1
	;; [unrolled: 1-line block ×4, first 2 shown]
	v_fma_f16 v17, v17, v1, -v53
	v_fma_f16 v44, v44, v1, v54
	v_fma_f16 v22, v22, v6, -v63
	v_fma_f16 v49, v49, v6, v64
	v_add_f16_e32 v51, v16, v25
	v_add_f16_e32 v52, v26, v43
	v_sub_f16_e32 v16, v16, v25
	v_sub_f16_e32 v43, v26, v43
	v_mul_f16_sdwa v57, v46, v3 dst_sel:DWORD dst_unused:UNUSED_PAD src0_sel:DWORD src1_sel:WORD_1
	v_mul_f16_sdwa v58, v19, v3 dst_sel:DWORD dst_unused:UNUSED_PAD src0_sel:DWORD src1_sel:WORD_1
	;; [unrolled: 1-line block ×4, first 2 shown]
	v_fma_f16 v18, v18, v2, -v55
	v_fma_f16 v45, v45, v2, v56
	v_fma_f16 v21, v21, v5, -v61
	v_fma_f16 v48, v48, v5, v62
	v_add_f16_e32 v53, v17, v22
	v_sub_f16_e32 v17, v17, v22
	v_sub_f16_e32 v22, v44, v49
	v_mul_f16_e32 v25, 0x3924, v16
	v_mul_f16_e32 v26, 0x3924, v43
	v_fma_f16 v19, v19, v3, -v57
	v_fma_f16 v46, v46, v3, v58
	v_fma_f16 v20, v20, v4, -v59
	v_fma_f16 v47, v47, v4, v60
	v_add_f16_e32 v54, v44, v49
	v_add_f16_e32 v55, v18, v21
	v_sub_f16_e32 v18, v18, v21
	v_sub_f16_e32 v21, v45, v48
	v_fma_f16 v49, v52, s5, v42
	v_fma_f16 v25, v17, s2, v25
	;; [unrolled: 1-line block ×3, first 2 shown]
	v_add_f16_e32 v56, v45, v48
	v_sub_f16_e32 v44, v19, v20
	v_sub_f16_e32 v45, v46, v47
	v_fma_f16 v49, v54, s16, v49
	v_fma_f16 v25, v18, s3, v25
	;; [unrolled: 1-line block ×5, first 2 shown]
	v_fma_f16 v26, v56, -0.5, v49
	v_add_f16_e32 v58, v46, v47
	v_fma_f16 v26, v58, s17, v26
	v_sub_f16_e32 v59, v26, v57
	v_fma_f16 v26, v57, 2.0, v59
	v_mul_f16_e32 v57, 0xb924, v44
	v_mul_f16_e32 v60, 0xb924, v45
	v_fma_f16 v57, v16, s2, v57
	v_fma_f16 v60, v43, s2, v60
	s_mov_b32 s2, 0xbaee
	v_fma_f16 v57, v18, s2, v57
	v_fma_f16 v60, v21, s2, v60
	v_add_f16_e32 v63, v44, v16
	v_add_f16_e32 v64, v45, v43
	v_mul_f16_e32 v44, 0x3be1, v44
	v_mul_f16_e32 v45, 0x3be1, v45
	v_fma_f16 v57, v17, s4, v57
	v_fma_f16 v60, v22, s4, v60
	v_sub_f16_e32 v63, v63, v17
	v_sub_f16_e32 v64, v64, v22
	v_fma_f16 v17, v17, s18, -v44
	v_fma_f16 v22, v22, s18, -v45
	v_add_f16_e32 v69, v53, v51
	v_fma_f16 v17, v18, s3, v17
	v_fma_f16 v18, v21, s3, v22
	;; [unrolled: 1-line block ×4, first 2 shown]
	v_add_f16_e32 v18, v55, v69
	v_add_f16_e32 v18, v19, v18
	;; [unrolled: 1-line block ×4, first 2 shown]
	v_fma_f16 v48, v51, s5, v15
	v_fma_f16 v61, v49, s5, v15
	v_add_f16_e32 v67, v55, v15
	v_add_f16_e32 v18, v18, v15
	v_fma_f16 v15, v53, s5, v15
	v_fma_f16 v20, v54, s5, v42
	;; [unrolled: 1-line block ×7, first 2 shown]
	v_add_f16_e32 v70, v54, v52
	v_fma_f16 v15, v55, -0.5, v15
	v_fma_f16 v20, v56, -0.5, v20
	v_fma_f16 v48, v53, s16, v48
	v_fma_f16 v61, v55, -0.5, v61
	v_fma_f16 v62, v56, -0.5, v62
	v_add_f16_e32 v68, v56, v42
	v_add_f16_e32 v71, v49, v69
	;; [unrolled: 1-line block ×4, first 2 shown]
	v_fma_f16 v15, v51, s17, v15
	v_fma_f16 v20, v52, s17, v20
	v_fma_f16 v48, v55, -0.5, v48
	v_fma_f16 v61, v53, s17, v61
	v_fma_f16 v62, v54, s17, v62
	v_fma_f16 v67, v71, -0.5, v67
	v_fma_f16 v68, v72, -0.5, v68
	v_add_f16_e32 v19, v46, v21
	v_add_f16_e32 v15, v17, v15
	v_sub_f16_e32 v20, v20, v16
	v_fma_f16 v48, v49, s17, v48
	v_add_f16_e32 v61, v60, v61
	v_sub_f16_e32 v62, v62, v57
	v_mul_f16_e32 v65, 0x3aee, v63
	v_mul_f16_e32 v66, 0x3aee, v64
	v_fma_f16 v64, v64, s3, v67
	v_fma_f16 v63, v63, s2, v68
	v_add_f16_e32 v19, v47, v19
	v_fma_f16 v17, v17, -2.0, v15
	v_fma_f16 v16, v16, 2.0, v20
	v_mul_u32_u24_e32 v21, 0x99, v24
	v_add_f16_e32 v48, v25, v48
	v_fma_f16 v60, v60, -2.0, v61
	v_fma_f16 v57, v57, 2.0, v62
	v_fma_f16 v66, v66, -2.0, v64
	v_fma_f16 v65, v65, 2.0, v63
	v_add_f16_e32 v19, v19, v42
	v_add_lshl_u32 v42, v21, v27, 2
	v_pack_b32_f16 v15, v15, v20
	v_pack_b32_f16 v16, v17, v16
	v_fma_f16 v25, v25, -2.0, v48
	v_pack_b32_f16 v18, v18, v19
	v_pack_b32_f16 v19, v48, v59
	ds_write2_b32 v42, v15, v16 offset0:68 offset1:85
	v_pack_b32_f16 v15, v66, v65
	v_pack_b32_f16 v16, v60, v57
	ds_write2_b32 v42, v18, v19 offset1:17
	v_pack_b32_f16 v18, v61, v62
	v_pack_b32_f16 v19, v64, v63
	ds_write2_b32 v42, v15, v16 offset0:102 offset1:119
	v_pack_b32_f16 v15, v25, v26
	v_add_u32_e32 v17, 0x600, v31
	ds_write2_b32 v42, v18, v19 offset0:34 offset1:51
	ds_write_b32 v42, v15 offset:544
	s_waitcnt lgkmcnt(0)
	s_barrier
	ds_read2_b32 v[15:16], v31 offset1:102
	ds_read2_b32 v[19:20], v17 offset0:75 offset1:177
	ds_read2_b32 v[17:18], v28 offset0:76 offset1:178
	;; [unrolled: 1-line block ×3, first 2 shown]
	v_cmp_gt_u16_e64 s[2:3], 51, v32
	s_and_saveexec_b64 s[4:5], s[2:3]
	s_cbranch_execz .LBB0_9
; %bb.8:
	ds_read_b32 v25, v31 offset:1632
	ds_read_b32 v30, v31 offset:3468
	s_waitcnt lgkmcnt(1)
	v_lshrrev_b32_e32 v26, 16, v25
	s_waitcnt lgkmcnt(0)
	v_lshrrev_b32_e32 v50, 16, v30
.LBB0_9:
	s_or_b64 exec, exec, s[4:5]
	v_add_co_u32_e32 v27, vcc, 0x66, v32
	v_addc_co_u32_e64 v24, s[4:5], 0, 0, vcc
	s_movk_i32 s4, 0xffcd
	v_add_co_u32_e32 v28, vcc, s4, v32
	v_addc_co_u32_e64 v29, s[4:5], 0, -1, vcc
	v_add_u32_e32 v43, 0x132, v32
	s_movk_i32 s4, 0x358b
	v_cndmask_b32_e64 v52, v29, v24, s[2:3]
	v_mul_u32_u24_sdwa v24, v43, s4 dst_sel:DWORD dst_unused:UNUSED_PAD src0_sel:WORD_0 src1_sel:DWORD
	v_lshrrev_b32_e32 v24, 21, v24
	v_cndmask_b32_e64 v51, v28, v27, s[2:3]
	v_mul_lo_u16_e32 v24, 0x99, v24
	v_add_u32_e32 v44, 0x198, v32
	v_lshlrev_b64 v[28:29], 2, v[51:52]
	v_sub_u16_e32 v24, v43, v24
	global_load_dword v46, v31, s[14:15] offset:544
	global_load_dword v47, v31, s[14:15] offset:748
	v_lshlrev_b32_e32 v45, 2, v24
	v_mul_u32_u24_sdwa v24, v44, s4 dst_sel:DWORD dst_unused:UNUSED_PAD src0_sel:WORD_0 src1_sel:DWORD
	v_mov_b32_e32 v53, s15
	v_add_co_u32_e32 v28, vcc, s14, v28
	v_lshrrev_b32_e32 v24, 21, v24
	v_addc_co_u32_e32 v29, vcc, v53, v29, vcc
	v_mul_lo_u16_e32 v24, 0x99, v24
	global_load_dword v48, v[28:29], off offset:544
	v_sub_u16_e32 v24, v44, v24
	v_lshlrev_b32_e32 v43, 2, v24
	global_load_dword v44, v43, s[14:15] offset:544
	global_load_dword v49, v45, s[14:15] offset:544
	s_waitcnt lgkmcnt(2)
	v_lshrrev_b32_e32 v52, 16, v19
	v_add_co_u32_e32 v28, vcc, s14, v31
	v_addc_co_u32_e32 v29, vcc, 0, v53, vcc
	v_lshrrev_b32_e32 v24, 16, v15
	s_waitcnt lgkmcnt(0)
	v_lshrrev_b32_e32 v57, 16, v21
	v_lshrrev_b32_e32 v55, 16, v20
	;; [unrolled: 1-line block ×5, first 2 shown]
	s_waitcnt vmcnt(0)
	s_barrier
	v_cmp_lt_u16_e32 vcc, 50, v32
	v_lshrrev_b32_e32 v58, 16, v18
	v_mul_f16_sdwa v53, v52, v46 dst_sel:DWORD dst_unused:UNUSED_PAD src0_sel:DWORD src1_sel:WORD_1
	v_mul_f16_sdwa v60, v19, v46 dst_sel:DWORD dst_unused:UNUSED_PAD src0_sel:DWORD src1_sel:WORD_1
	;; [unrolled: 1-line block ×3, first 2 shown]
	v_fma_f16 v19, v19, v46, -v53
	v_fma_f16 v52, v52, v46, v60
	v_mul_f16_sdwa v61, v57, v47 dst_sel:DWORD dst_unused:UNUSED_PAD src0_sel:DWORD src1_sel:WORD_1
	v_fma_f16 v53, v57, v47, v62
	v_sub_f16_e32 v19, v15, v19
	v_sub_f16_e32 v57, v24, v52
	v_fma_f16 v15, v15, 2.0, -v19
	v_fma_f16 v24, v24, 2.0, -v57
	v_pack_b32_f16 v15, v15, v24
	v_mul_f16_sdwa v24, v55, v48 dst_sel:DWORD dst_unused:UNUSED_PAD src0_sel:DWORD src1_sel:WORD_1
	v_mul_f16_sdwa v52, v20, v48 dst_sel:DWORD dst_unused:UNUSED_PAD src0_sel:DWORD src1_sel:WORD_1
	;; [unrolled: 1-line block ×3, first 2 shown]
	v_fma_f16 v20, v20, v48, -v24
	v_fma_f16 v24, v55, v48, v52
	v_pack_b32_f16 v19, v19, v57
	v_fma_f16 v21, v21, v47, -v61
	v_mul_f16_sdwa v60, v59, v49 dst_sel:DWORD dst_unused:UNUSED_PAD src0_sel:DWORD src1_sel:WORD_1
	v_mul_f16_sdwa v61, v22, v49 dst_sel:DWORD dst_unused:UNUSED_PAD src0_sel:DWORD src1_sel:WORD_1
	;; [unrolled: 1-line block ×3, first 2 shown]
	v_fma_f16 v30, v30, v44, -v62
	v_sub_f16_e32 v20, v16, v20
	v_sub_f16_e32 v55, v54, v24
	ds_write2_b32 v31, v15, v19 offset1:153
	v_mov_b32_e32 v15, 0x132
	v_sub_f16_e32 v21, v17, v21
	v_sub_f16_e32 v53, v56, v53
	v_fma_f16 v22, v22, v49, -v60
	v_fma_f16 v52, v59, v49, v61
	v_fma_f16 v50, v50, v44, v63
	v_sub_f16_e32 v24, v25, v30
	v_fma_f16 v16, v16, 2.0, -v20
	v_fma_f16 v30, v54, 2.0, -v55
	v_cndmask_b32_e32 v15, 0, v15, vcc
	v_fma_f16 v17, v17, 2.0, -v21
	v_fma_f16 v56, v56, 2.0, -v53
	v_sub_f16_e32 v22, v18, v22
	v_sub_f16_e32 v59, v58, v52
	;; [unrolled: 1-line block ×3, first 2 shown]
	v_add_lshl_u32 v50, v51, v15, 2
	v_pack_b32_f16 v15, v16, v30
	v_pack_b32_f16 v16, v20, v55
	v_fma_f16 v18, v18, 2.0, -v22
	v_fma_f16 v54, v58, 2.0, -v59
	ds_write2_b32 v50, v15, v16 offset1:153
	v_pack_b32_f16 v15, v17, v56
	v_pack_b32_f16 v16, v21, v53
	ds_write2_b32 v23, v15, v16 offset0:101 offset1:254
	v_pack_b32_f16 v15, v18, v54
	v_pack_b32_f16 v16, v22, v59
	v_add_u32_e32 v17, 0x800, v45
	ds_write2_b32 v17, v15, v16 offset0:100 offset1:253
	s_and_saveexec_b64 s[4:5], s[2:3]
	s_cbranch_execz .LBB0_11
; %bb.10:
	v_fma_f16 v15, v25, 2.0, -v24
	v_fma_f16 v16, v26, 2.0, -v52
	s_mov_b32 s16, 0x5040100
	v_pack_b32_f16 v15, v15, v16
	v_perm_b32 v16, v52, v24, s16
	v_add_u32_e32 v17, 0x800, v43
	ds_write2_b32 v17, v15, v16 offset0:100 offset1:253
.LBB0_11:
	s_or_b64 exec, exec, s[4:5]
	v_add_co_u32_e32 v15, vcc, v28, v31
	v_addc_co_u32_e32 v16, vcc, 0, v29, vcc
	v_lshlrev_b32_e32 v17, 3, v27
	v_mov_b32_e32 v19, 0x660
	s_waitcnt lgkmcnt(0)
	s_barrier
	global_load_dwordx2 v[15:16], v[15:16], off offset:1156
	v_lshl_add_u32 v19, v32, 3, v19
	global_load_dwordx2 v[17:18], v17, s[14:15] offset:1156
	v_add_u32_e32 v63, 0x200, v31
	global_load_dwordx2 v[19:20], v19, s[14:15] offset:1156
	ds_read2_b32 v[22:23], v31 offset1:102
	v_add_u32_e32 v58, 0x800, v31
	v_add_u32_e32 v59, 0x400, v31
	ds_read_b32 v21, v31 offset:3264
	ds_read2_b32 v[60:61], v63 offset0:76 offset1:178
	ds_read2_b32 v[25:26], v58 offset0:100 offset1:202
	;; [unrolled: 1-line block ×3, first 2 shown]
	s_waitcnt lgkmcnt(4)
	v_lshrrev_b32_e32 v29, 16, v22
	v_lshrrev_b32_e32 v30, 16, v23
	s_waitcnt lgkmcnt(2)
	v_lshrrev_b32_e32 v53, 16, v61
	s_waitcnt lgkmcnt(1)
	;; [unrolled: 2-line block ×3, first 2 shown]
	v_lshrrev_b32_e32 v55, 16, v27
	v_lshrrev_b32_e32 v54, 16, v25
	;; [unrolled: 1-line block ×4, first 2 shown]
	s_movk_i32 s4, 0x3aee
	s_mov_b32 s5, 0xbaee
	v_lshrrev_b32_e32 v62, 16, v60
	s_waitcnt vmcnt(2)
	v_mul_f16_sdwa v65, v61, v15 dst_sel:DWORD dst_unused:UNUSED_PAD src0_sel:DWORD src1_sel:WORD_1
	v_mul_f16_sdwa v67, v25, v16 dst_sel:DWORD dst_unused:UNUSED_PAD src0_sel:DWORD src1_sel:WORD_1
	s_waitcnt vmcnt(1)
	v_mul_f16_sdwa v68, v55, v17 dst_sel:DWORD dst_unused:UNUSED_PAD src0_sel:DWORD src1_sel:WORD_1
	v_mul_f16_sdwa v70, v56, v18 dst_sel:DWORD dst_unused:UNUSED_PAD src0_sel:DWORD src1_sel:WORD_1
	;; [unrolled: 1-line block ×6, first 2 shown]
	v_fma_f16 v53, v53, v15, v65
	v_fma_f16 v54, v54, v16, v67
	v_fma_f16 v27, v27, v17, -v68
	v_fma_f16 v26, v26, v18, -v70
	s_waitcnt vmcnt(0)
	v_mul_f16_sdwa v65, v28, v19 dst_sel:DWORD dst_unused:UNUSED_PAD src0_sel:DWORD src1_sel:WORD_1
	v_mul_f16_sdwa v67, v21, v20 dst_sel:DWORD dst_unused:UNUSED_PAD src0_sel:DWORD src1_sel:WORD_1
	v_fma_f16 v61, v61, v15, -v64
	v_fma_f16 v25, v25, v16, -v66
	v_fma_f16 v55, v55, v17, v69
	v_fma_f16 v56, v56, v18, v71
	v_mul_f16_sdwa v64, v57, v19 dst_sel:DWORD dst_unused:UNUSED_PAD src0_sel:DWORD src1_sel:WORD_1
	v_mul_f16_sdwa v66, v51, v20 dst_sel:DWORD dst_unused:UNUSED_PAD src0_sel:DWORD src1_sel:WORD_1
	v_fma_f16 v65, v57, v19, v65
	v_fma_f16 v67, v51, v20, v67
	v_sub_f16_e32 v57, v53, v54
	v_add_f16_e32 v51, v29, v53
	v_add_f16_e32 v53, v53, v54
	;; [unrolled: 1-line block ×3, first 2 shown]
	v_fma_f16 v64, v28, v19, -v64
	v_fma_f16 v66, v21, v20, -v66
	v_add_f16_e32 v21, v22, v61
	v_add_f16_e32 v28, v61, v25
	v_sub_f16_e32 v61, v61, v25
	v_add_f16_e32 v68, v23, v27
	v_sub_f16_e32 v70, v55, v56
	v_add_f16_e32 v71, v30, v55
	v_add_f16_e32 v55, v55, v56
	v_sub_f16_e32 v72, v27, v26
	v_fma_f16 v27, v53, -0.5, v29
	v_fma_f16 v23, v69, -0.5, v23
	v_add_f16_e32 v21, v21, v25
	v_fma_f16 v25, v28, -0.5, v22
	v_add_f16_e32 v51, v51, v54
	v_fma_f16 v29, v55, -0.5, v30
	v_fma_f16 v54, v61, s5, v27
	v_fma_f16 v55, v61, s4, v27
	;; [unrolled: 1-line block ×4, first 2 shown]
	v_add_f16_e32 v23, v64, v66
	v_add_f16_e32 v30, v60, v64
	v_fma_f16 v23, v23, -0.5, v60
	v_sub_f16_e32 v60, v65, v67
	v_add_f16_e32 v61, v65, v67
	v_add_f16_e32 v26, v68, v26
	;; [unrolled: 1-line block ×3, first 2 shown]
	v_fma_f16 v22, v57, s4, v25
	v_fma_f16 v25, v57, s5, v25
	;; [unrolled: 1-line block ×4, first 2 shown]
	v_add_f16_e32 v29, v30, v66
	v_fma_f16 v30, v60, s4, v23
	v_fma_f16 v23, v60, s5, v23
	v_add_f16_e32 v60, v62, v65
	v_fma_f16 v62, v61, -0.5, v62
	v_sub_f16_e32 v64, v64, v66
	v_add_f16_e32 v60, v60, v67
	v_fma_f16 v61, v64, s5, v62
	v_fma_f16 v62, v64, s4, v62
	v_pack_b32_f16 v64, v21, v51
	v_pack_b32_f16 v67, v26, v53
	;; [unrolled: 1-line block ×3, first 2 shown]
	ds_write2_b32 v31, v64, v67 offset1:102
	v_pack_b32_f16 v67, v28, v57
	v_pack_b32_f16 v65, v22, v54
	ds_write2_b32 v58, v66, v67 offset0:100 offset1:202
	v_pack_b32_f16 v66, v29, v60
	v_pack_b32_f16 v64, v27, v56
	ds_write2_b32 v63, v66, v65 offset0:76 offset1:178
	v_pack_b32_f16 v63, v30, v61
	ds_write2_b32 v59, v64, v63 offset0:152 offset1:254
	v_pack_b32_f16 v63, v23, v62
	ds_write_b32 v31, v63 offset:3264
	s_waitcnt lgkmcnt(0)
	s_barrier
	s_and_saveexec_b64 s[4:5], s[0:1]
	s_cbranch_execz .LBB0_13
; %bb.12:
	global_load_dword v63, v31, s[6:7] offset:3672
	s_add_u32 s14, s6, 0xe58
	s_addc_u32 s15, s7, 0
	global_load_dword v73, v31, s[14:15] offset:216
	global_load_dword v74, v31, s[14:15] offset:432
	;; [unrolled: 1-line block ×10, first 2 shown]
	ds_read_b32 v64, v31
	global_load_dword v84, v31, s[14:15] offset:2376
	global_load_dword v85, v31, s[14:15] offset:2592
	;; [unrolled: 1-line block ×6, first 2 shown]
	v_add_u32_e32 v83, 0x600, v31
	s_waitcnt lgkmcnt(0)
	v_lshrrev_b32_e32 v65, 16, v64
	s_waitcnt vmcnt(16)
	v_mul_f16_sdwa v66, v65, v63 dst_sel:DWORD dst_unused:UNUSED_PAD src0_sel:DWORD src1_sel:WORD_1
	v_mul_f16_sdwa v67, v64, v63 dst_sel:DWORD dst_unused:UNUSED_PAD src0_sel:DWORD src1_sel:WORD_1
	v_fma_f16 v64, v64, v63, -v66
	v_fma_f16 v63, v65, v63, v67
	v_pack_b32_f16 v63, v64, v63
	ds_write_b32 v31, v63
	ds_read2_b32 v[63:64], v31 offset0:54 offset1:108
	ds_read2_b32 v[65:66], v31 offset0:162 offset1:216
	;; [unrolled: 1-line block ×5, first 2 shown]
	s_waitcnt lgkmcnt(4)
	v_lshrrev_b32_e32 v90, 16, v63
	s_waitcnt vmcnt(15)
	v_mul_f16_sdwa v91, v63, v73 dst_sel:DWORD dst_unused:UNUSED_PAD src0_sel:DWORD src1_sel:WORD_1
	v_lshrrev_b32_e32 v92, 16, v64
	s_waitcnt vmcnt(14)
	v_mul_f16_sdwa v93, v64, v74 dst_sel:DWORD dst_unused:UNUSED_PAD src0_sel:DWORD src1_sel:WORD_1
	s_waitcnt lgkmcnt(3)
	v_lshrrev_b32_e32 v94, 16, v65
	s_waitcnt vmcnt(13)
	v_mul_f16_sdwa v95, v65, v75 dst_sel:DWORD dst_unused:UNUSED_PAD src0_sel:DWORD src1_sel:WORD_1
	v_lshrrev_b32_e32 v96, 16, v66
	s_waitcnt vmcnt(12)
	v_mul_f16_sdwa v97, v66, v76 dst_sel:DWORD dst_unused:UNUSED_PAD src0_sel:DWORD src1_sel:WORD_1
	;; [unrolled: 7-line block ×3, first 2 shown]
	s_waitcnt lgkmcnt(1)
	v_lshrrev_b32_e32 v102, 16, v69
	s_waitcnt vmcnt(9)
	v_mul_f16_sdwa v103, v69, v79 dst_sel:DWORD dst_unused:UNUSED_PAD src0_sel:DWORD src1_sel:WORD_1
	v_lshrrev_b32_e32 v104, 16, v70
	v_mul_f16_sdwa v109, v90, v73 dst_sel:DWORD dst_unused:UNUSED_PAD src0_sel:DWORD src1_sel:WORD_1
	v_fma_f16 v90, v90, v73, v91
	v_mul_f16_sdwa v91, v92, v74 dst_sel:DWORD dst_unused:UNUSED_PAD src0_sel:DWORD src1_sel:WORD_1
	s_waitcnt vmcnt(8)
	v_mul_f16_sdwa v105, v70, v80 dst_sel:DWORD dst_unused:UNUSED_PAD src0_sel:DWORD src1_sel:WORD_1
	v_fma_f16 v92, v92, v74, v93
	v_mul_f16_sdwa v93, v94, v75 dst_sel:DWORD dst_unused:UNUSED_PAD src0_sel:DWORD src1_sel:WORD_1
	v_fma_f16 v94, v94, v75, v95
	;; [unrolled: 2-line block ×6, first 2 shown]
	v_mul_f16_sdwa v103, v104, v80 dst_sel:DWORD dst_unused:UNUSED_PAD src0_sel:DWORD src1_sel:WORD_1
	v_fma_f16 v63, v63, v73, -v109
	v_fma_f16 v64, v64, v74, -v91
	v_fma_f16 v104, v104, v80, v105
	v_fma_f16 v65, v65, v75, -v93
	v_fma_f16 v66, v66, v76, -v95
	;; [unrolled: 1-line block ×6, first 2 shown]
	v_pack_b32_f16 v63, v63, v90
	v_pack_b32_f16 v64, v64, v92
	;; [unrolled: 1-line block ×8, first 2 shown]
	ds_write2_b32 v31, v63, v64 offset0:54 offset1:108
	ds_write2_b32 v31, v65, v66 offset0:162 offset1:216
	;; [unrolled: 1-line block ×4, first 2 shown]
	ds_read2_b32 v[63:64], v58 offset0:82 offset1:136
	s_waitcnt lgkmcnt(5)
	v_lshrrev_b32_e32 v106, 16, v71
	s_waitcnt vmcnt(7)
	v_mul_f16_sdwa v107, v71, v81 dst_sel:DWORD dst_unused:UNUSED_PAD src0_sel:DWORD src1_sel:WORD_1
	v_lshrrev_b32_e32 v108, 16, v72
	v_mul_f16_sdwa v105, v106, v81 dst_sel:DWORD dst_unused:UNUSED_PAD src0_sel:DWORD src1_sel:WORD_1
	v_fma_f16 v106, v106, v81, v107
	s_waitcnt vmcnt(6)
	v_mul_f16_sdwa v107, v108, v82 dst_sel:DWORD dst_unused:UNUSED_PAD src0_sel:DWORD src1_sel:WORD_1
	v_mul_f16_sdwa v59, v72, v82 dst_sel:DWORD dst_unused:UNUSED_PAD src0_sel:DWORD src1_sel:WORD_1
	v_fma_f16 v71, v71, v81, -v105
	v_fma_f16 v73, v72, v82, -v107
	v_fma_f16 v59, v108, v82, v59
	v_pack_b32_f16 v71, v71, v106
	v_pack_b32_f16 v59, v73, v59
	ds_write2_b32 v83, v71, v59 offset0:102 offset1:156
	s_waitcnt lgkmcnt(1)
	v_lshrrev_b32_e32 v59, 16, v63
	s_waitcnt vmcnt(5)
	v_mul_f16_sdwa v65, v59, v84 dst_sel:DWORD dst_unused:UNUSED_PAD src0_sel:DWORD src1_sel:WORD_1
	v_fma_f16 v65, v63, v84, -v65
	v_mul_f16_sdwa v63, v63, v84 dst_sel:DWORD dst_unused:UNUSED_PAD src0_sel:DWORD src1_sel:WORD_1
	v_fma_f16 v59, v59, v84, v63
	v_lshrrev_b32_e32 v63, 16, v64
	v_pack_b32_f16 v59, v65, v59
	s_waitcnt vmcnt(4)
	v_mul_f16_sdwa v65, v63, v85 dst_sel:DWORD dst_unused:UNUSED_PAD src0_sel:DWORD src1_sel:WORD_1
	v_fma_f16 v67, v64, v85, -v65
	ds_read2_b32 v[65:66], v58 offset0:190 offset1:244
	v_mul_f16_sdwa v64, v64, v85 dst_sel:DWORD dst_unused:UNUSED_PAD src0_sel:DWORD src1_sel:WORD_1
	v_fma_f16 v63, v63, v85, v64
	v_pack_b32_f16 v63, v67, v63
	ds_write2_b32 v58, v59, v63 offset0:82 offset1:136
	s_waitcnt lgkmcnt(1)
	v_lshrrev_b32_e32 v59, 16, v65
	s_waitcnt vmcnt(3)
	v_mul_f16_sdwa v63, v59, v86 dst_sel:DWORD dst_unused:UNUSED_PAD src0_sel:DWORD src1_sel:WORD_1
	v_mul_f16_sdwa v64, v65, v86 dst_sel:DWORD dst_unused:UNUSED_PAD src0_sel:DWORD src1_sel:WORD_1
	v_fma_f16 v63, v65, v86, -v63
	v_fma_f16 v59, v59, v86, v64
	v_lshrrev_b32_e32 v65, 16, v66
	v_pack_b32_f16 v59, v63, v59
	s_waitcnt vmcnt(2)
	v_mul_f16_sdwa v63, v65, v87 dst_sel:DWORD dst_unused:UNUSED_PAD src0_sel:DWORD src1_sel:WORD_1
	v_add_u32_e32 v68, 0xc00, v31
	v_fma_f16 v67, v66, v87, -v63
	ds_read2_b32 v[63:64], v68 offset0:42 offset1:96
	v_mul_f16_sdwa v66, v66, v87 dst_sel:DWORD dst_unused:UNUSED_PAD src0_sel:DWORD src1_sel:WORD_1
	v_fma_f16 v65, v65, v87, v66
	v_pack_b32_f16 v65, v67, v65
	ds_write2_b32 v58, v59, v65 offset0:190 offset1:244
	s_waitcnt lgkmcnt(1)
	v_lshrrev_b32_e32 v58, 16, v63
	s_waitcnt vmcnt(1)
	v_mul_f16_sdwa v59, v58, v88 dst_sel:DWORD dst_unused:UNUSED_PAD src0_sel:DWORD src1_sel:WORD_1
	v_fma_f16 v59, v63, v88, -v59
	v_mul_f16_sdwa v63, v63, v88 dst_sel:DWORD dst_unused:UNUSED_PAD src0_sel:DWORD src1_sel:WORD_1
	v_fma_f16 v58, v58, v88, v63
	v_pack_b32_f16 v58, v59, v58
	v_lshrrev_b32_e32 v59, 16, v64
	s_waitcnt vmcnt(0)
	v_mul_f16_sdwa v63, v59, v89 dst_sel:DWORD dst_unused:UNUSED_PAD src0_sel:DWORD src1_sel:WORD_1
	v_fma_f16 v63, v64, v89, -v63
	v_mul_f16_sdwa v64, v64, v89 dst_sel:DWORD dst_unused:UNUSED_PAD src0_sel:DWORD src1_sel:WORD_1
	v_fma_f16 v59, v59, v89, v64
	v_pack_b32_f16 v59, v63, v59
	ds_write2_b32 v68, v58, v59 offset0:42 offset1:96
.LBB0_13:
	s_or_b64 exec, exec, s[4:5]
	s_waitcnt lgkmcnt(0)
	s_barrier
	s_and_saveexec_b64 s[4:5], s[0:1]
	s_cbranch_execz .LBB0_15
; %bb.14:
	v_add_u32_e32 v9, 0x200, v31
	ds_read2_b32 v[21:22], v31 offset1:54
	ds_read2_b32 v[25:26], v31 offset0:108 offset1:162
	ds_read2_b32 v[27:28], v9 offset0:88 offset1:142
	v_add_u32_e32 v9, 0x400, v31
	ds_read2_b32 v[29:30], v9 offset0:68 offset1:122
	ds_read2_b32 v[23:24], v9 offset0:176 offset1:230
	v_add_u32_e32 v9, 0x800, v31
	v_add_u32_e32 v13, 0xa00, v31
	ds_read2_b32 v[11:12], v9 offset0:28 offset1:82
	ds_read2_b32 v[9:10], v9 offset0:136 offset1:190
	;; [unrolled: 1-line block ×3, first 2 shown]
	ds_read_b32 v34, v31 offset:3456
	s_waitcnt lgkmcnt(8)
	v_lshrrev_b32_e32 v51, 16, v21
	v_lshrrev_b32_e32 v54, 16, v22
	s_waitcnt lgkmcnt(7)
	v_lshrrev_b32_e32 v55, 16, v25
	v_lshrrev_b32_e32 v53, 16, v26
	;; [unrolled: 3-line block ×8, first 2 shown]
	s_waitcnt lgkmcnt(0)
	v_lshrrev_b32_e32 v41, 16, v34
.LBB0_15:
	s_or_b64 exec, exec, s[4:5]
	v_sub_f16_e32 v84, v54, v41
	v_add_f16_e32 v63, v34, v22
	v_add_f16_e32 v87, v41, v54
	s_mov_b32 s14, 0xbbdd
	v_mul_f16_e32 v80, 0xb1e1, v84
	v_sub_f16_e32 v85, v55, v36
	v_sub_f16_e32 v65, v22, v34
	s_mov_b32 s15, 0xb1e1
	v_mul_f16_e32 v79, 0xbbdd, v87
	v_fma_f16 v58, v63, s14, -v80
	v_add_f16_e32 v64, v14, v25
	v_add_f16_e32 v89, v36, v55
	s_movk_i32 s16, 0x3b76
	v_mul_f16_e32 v81, 0x35c8, v85
	v_add_f16_e32 v58, v21, v58
	v_fma_f16 v59, v65, s15, v79
	v_sub_f16_e32 v67, v25, v14
	s_movk_i32 s21, 0x35c8
	v_mul_f16_e32 v83, 0x3b76, v89
	v_fma_f16 v66, v64, s16, -v81
	v_add_f16_e32 v59, v51, v59
	v_add_f16_e32 v58, v66, v58
	v_fma_f16 v66, v67, s21, v83
	v_sub_f16_e32 v86, v53, v37
	v_add_f16_e32 v59, v66, v59
	v_add_f16_e32 v66, v13, v26
	v_add_f16_e32 v91, v37, v53
	s_mov_b32 s17, 0xbacd
	v_mul_f16_e32 v82, 0xb836, v86
	v_sub_f16_e32 v69, v26, v13
	s_mov_b32 s18, 0xb836
	v_mul_f16_e32 v101, 0xbacd, v91
	v_fma_f16 v68, v66, s17, -v82
	v_add_f16_e32 v58, v68, v58
	v_fma_f16 v68, v69, s18, v101
	v_sub_f16_e32 v88, v56, v39
	v_add_f16_e32 v59, v68, v59
	v_add_f16_e32 v68, v10, v27
	v_add_f16_e32 v93, v39, v56
	s_movk_i32 s19, 0x39e9
	v_mul_f16_e32 v100, 0x3964, v88
	v_sub_f16_e32 v71, v27, v10
	s_movk_i32 s28, 0x3964
	v_mul_f16_e32 v103, 0x39e9, v93
	v_fma_f16 v70, v68, s19, -v100
	v_add_f16_e32 v58, v70, v58
	v_fma_f16 v70, v71, s28, v103
	v_sub_f16_e32 v90, v57, v40
	v_add_f16_e32 v59, v70, v59
	v_add_f16_e32 v70, v9, v28
	v_add_f16_e32 v95, v40, v57
	s_mov_b32 s20, 0xb8d2
	v_mul_f16_e32 v102, 0xba62, v90
	v_sub_f16_e32 v73, v28, v9
	s_mov_b32 s22, 0xba62
	v_mul_f16_e32 v105, 0xb8d2, v95
	v_fma_f16 v72, v70, s20, -v102
	v_add_f16_e32 v58, v72, v58
	v_fma_f16 v72, v73, s22, v105
	v_sub_f16_e32 v92, v60, v38
	v_add_f16_e32 v59, v72, v59
	v_add_f16_e32 v72, v12, v29
	v_add_f16_e32 v97, v38, v60
	s_movk_i32 s23, 0x3722
	v_mul_f16_e32 v104, 0x3b29, v92
	v_sub_f16_e32 v75, v29, v12
	s_movk_i32 s27, 0x3b29
	v_mul_f16_e32 v107, 0x3722, v97
	v_fma_f16 v74, v72, s23, -v104
	v_add_f16_e32 v58, v74, v58
	v_fma_f16 v74, v75, s27, v107
	v_sub_f16_e32 v94, v61, v35
	v_add_f16_e32 v59, v74, v59
	v_add_f16_e32 v74, v11, v30
	v_add_f16_e32 v98, v35, v61
	s_mov_b32 s24, 0xb461
	v_mul_f16_e32 v106, 0xbbb2, v94
	v_sub_f16_e32 v77, v30, v11
	s_mov_b32 s26, 0xbbb2
	v_mul_f16_e32 v109, 0xb461, v98
	v_fma_f16 v76, v74, s24, -v106
	v_add_f16_e32 v58, v76, v58
	v_fma_f16 v76, v77, s26, v109
	v_sub_f16_e32 v96, v62, v52
	v_add_f16_e32 v59, v76, v59
	v_add_f16_e32 v76, v24, v23
	v_add_f16_e32 v99, v52, v62
	s_movk_i32 s25, 0x2de8
	v_mul_f16_e32 v108, 0x3bf7, v96
	v_sub_f16_e32 v78, v23, v24
	s_movk_i32 s36, 0x3bf7
	v_mul_f16_e32 v110, 0x2de8, v99
	v_fma_f16 v111, v76, s25, -v108
	v_add_f16_e32 v58, v111, v58
	v_fma_f16 v111, v78, s36, v110
	v_add_f16_e32 v59, v111, v59
	s_barrier
	s_and_saveexec_b64 s[4:5], s[0:1]
	s_cbranch_execz .LBB0_17
; %bb.16:
	v_mul_f16_e32 v111, 0xbbdd, v63
	v_mul_f16_e32 v113, 0x3b76, v64
	v_add_f16_e32 v80, v111, v80
	v_mul_f16_e32 v115, 0xbacd, v66
	v_add_f16_e32 v80, v21, v80
	v_add_f16_e32 v81, v113, v81
	v_mul_f16_e32 v117, 0x39e9, v68
	v_add_f16_e32 v80, v81, v80
	;; [unrolled: 3-line block ×4, first 2 shown]
	v_add_f16_e32 v81, v119, v102
	v_mul_f16_e32 v112, 0xb1e1, v65
	v_mul_f16_e32 v123, 0xb461, v74
	v_add_f16_e32 v80, v81, v80
	v_add_f16_e32 v81, v121, v104
	v_mul_f16_e32 v114, 0x35c8, v67
	v_mul_f16_e32 v125, 0x2de8, v76
	v_sub_f16_e32 v79, v79, v112
	v_add_f16_e32 v80, v81, v80
	v_add_f16_e32 v81, v123, v106
	v_mul_f16_e32 v116, 0xb836, v69
	v_add_f16_e32 v79, v51, v79
	v_sub_f16_e32 v83, v83, v114
	v_add_f16_e32 v80, v81, v80
	v_add_f16_e32 v81, v125, v108
	v_mul_f16_e32 v100, 0xbacd, v87
	s_movk_i32 s31, 0x3836
	v_add_f16_e32 v79, v83, v79
	v_sub_f16_e32 v83, v101, v116
	v_add_f16_e32 v80, v81, v80
	v_fma_f16 v81, v65, s31, v100
	v_mul_f16_e32 v101, 0x3722, v89
	s_mov_b32 s29, 0xbb29
	v_mul_f16_e32 v118, 0x3964, v71
	v_add_f16_e32 v81, v51, v81
	v_fma_f16 v82, v67, s29, v101
	v_mul_f16_e32 v102, 0x2de8, v91
	v_add_f16_e32 v79, v83, v79
	v_sub_f16_e32 v83, v103, v118
	v_add_f16_e32 v81, v82, v81
	v_fma_f16 v82, v69, s36, v102
	v_mul_f16_e32 v103, 0xb8d2, v93
	v_mul_f16_e32 v120, 0xba62, v73
	v_add_f16_e32 v81, v82, v81
	v_fma_f16 v82, v71, s22, v103
	v_mul_f16_e32 v104, 0x3b76, v95
	v_add_f16_e32 v79, v83, v79
	v_sub_f16_e32 v83, v105, v120
	v_add_f16_e32 v81, v82, v81
	v_fma_f16 v82, v73, s21, v104
	v_mul_f16_e32 v105, 0xbbdd, v97
	s_movk_i32 s37, 0x31e1
	v_mul_f16_e32 v122, 0x3b29, v75
	v_add_f16_e32 v81, v82, v81
	v_fma_f16 v82, v75, s37, v105
	v_mul_f16_e32 v106, 0x39e9, v98
	s_mov_b32 s30, 0xb964
	v_mul_f16_e32 v124, 0xbbb2, v77
	v_add_f16_e32 v79, v83, v79
	v_sub_f16_e32 v83, v107, v122
	v_add_f16_e32 v81, v82, v81
	v_fma_f16 v82, v77, s30, v106
	v_mul_f16_e32 v107, 0xb461, v99
	s_movk_i32 s35, 0x3bb2
	v_mul_f16_e32 v126, 0x3bf7, v78
	v_add_f16_e32 v79, v83, v79
	v_sub_f16_e32 v83, v109, v124
	v_add_f16_e32 v81, v82, v81
	v_fma_f16 v82, v78, s35, v107
	v_mul_f16_e32 v108, 0xb836, v84
	v_add_f16_e32 v79, v83, v79
	v_sub_f16_e32 v83, v110, v126
	v_add_f16_e32 v81, v82, v81
	v_fma_f16 v82, v63, s17, v108
	v_mul_f16_e32 v109, 0x3b29, v85
	v_add_f16_e32 v79, v83, v79
	v_add_f16_e32 v82, v21, v82
	v_fma_f16 v83, v64, s23, v109
	v_mul_f16_e32 v110, 0xbbf7, v86
	v_add_f16_e32 v82, v83, v82
	v_fma_f16 v83, v66, s25, v110
	v_mul_f16_e32 v111, 0x3a62, v88
	;; [unrolled: 3-line block ×6, first 2 shown]
	s_movk_i32 s38, 0x3a62
	v_add_f16_e32 v82, v83, v82
	v_fma_f16 v83, v76, s24, v115
	v_mul_f16_e32 v116, 0xb8d2, v87
	v_add_f16_e32 v82, v83, v82
	v_fma_f16 v83, v65, s38, v116
	v_mul_f16_e32 v117, 0xb461, v89
	v_add_f16_e32 v83, v51, v83
	v_fma_f16 v118, v67, s26, v117
	v_add_f16_e32 v83, v118, v83
	v_mul_f16_e32 v118, 0x3b76, v91
	v_fma_f16 v119, v69, s21, v118
	v_add_f16_e32 v83, v119, v83
	v_mul_f16_e32 v119, 0xbacd, v93
	v_fma_f16 v120, v71, s31, v119
	s_mov_b32 s33, 0xbbf7
	v_add_f16_e32 v83, v120, v83
	v_mul_f16_e32 v120, 0x2de8, v95
	v_fma_f16 v121, v73, s33, v120
	v_add_f16_e32 v83, v121, v83
	v_mul_f16_e32 v121, 0x39e9, v97
	v_fma_f16 v122, v75, s28, v121
	;; [unrolled: 3-line block ×5, first 2 shown]
	v_mul_f16_e32 v126, 0x3bb2, v85
	v_add_f16_e32 v125, v21, v125
	v_fma_f16 v127, v64, s24, v126
	v_add_f16_e32 v125, v127, v125
	v_mul_f16_e32 v127, 0xb5c8, v86
	v_fma_f16 v128, v66, s16, v127
	v_add_f16_e32 v125, v128, v125
	v_mul_f16_e32 v128, 0xb836, v88
	;; [unrolled: 3-line block ×7, first 2 shown]
	v_fma_f16 v134, v65, s35, v133
	v_mul_f16_e32 v135, 0xbacd, v89
	v_add_f16_e32 v134, v51, v134
	v_fma_f16 v136, v67, s18, v135
	v_add_f16_e32 v134, v136, v134
	v_mul_f16_e32 v136, 0x39e9, v91
	v_fma_f16 v137, v69, s30, v136
	v_add_f16_e32 v134, v137, v134
	v_mul_f16_e32 v137, 0x3722, v93
	;; [unrolled: 3-line block ×6, first 2 shown]
	v_fma_f16 v142, v78, s38, v141
	v_add_f16_e32 v22, v22, v21
	v_add_f16_e32 v134, v142, v134
	v_mul_f16_e32 v142, 0xbbb2, v84
	v_add_f16_e32 v22, v25, v22
	v_fma_f16 v143, v63, s24, v142
	v_mul_f16_e32 v144, 0x3836, v85
	v_add_f16_e32 v22, v26, v22
	v_add_f16_e32 v143, v21, v143
	v_fma_f16 v145, v64, s17, v144
	v_add_f16_e32 v22, v27, v22
	v_add_f16_e32 v143, v145, v143
	v_mul_f16_e32 v145, 0x3964, v86
	v_add_f16_e32 v22, v28, v22
	v_fma_f16 v146, v66, s19, v145
	v_add_f16_e32 v22, v29, v22
	v_add_f16_e32 v143, v146, v143
	v_mul_f16_e32 v146, 0xbb29, v88
	;; [unrolled: 5-line block ×4, first 2 shown]
	v_add_f16_e32 v11, v12, v11
	v_fma_f16 v149, v72, s25, v148
	v_add_f16_e32 v9, v9, v11
	v_fma_f16 v11, v65, s18, v100
	v_add_f16_e32 v143, v149, v143
	v_mul_f16_e32 v149, 0xb5c8, v94
	v_add_f16_e32 v11, v51, v11
	v_fma_f16 v12, v67, s27, v101
	v_fma_f16 v150, v74, s16, v149
	v_add_f16_e32 v11, v12, v11
	v_fma_f16 v12, v69, s33, v102
	s_mov_b32 s34, 0xb5c8
	v_add_f16_e32 v143, v150, v143
	v_mul_f16_e32 v150, 0xba62, v96
	v_add_f16_e32 v11, v12, v11
	v_fma_f16 v12, v71, s38, v103
	v_fma_f16 v151, v76, s20, v150
	v_add_f16_e32 v11, v12, v11
	v_fma_f16 v12, v73, s34, v104
	v_add_f16_e32 v143, v151, v143
	v_mul_f16_e32 v151, 0x2de8, v87
	v_add_f16_e32 v11, v12, v11
	v_fma_f16 v12, v75, s15, v105
	v_fma_f16 v152, v65, s36, v151
	v_mul_f16_e32 v153, 0xbbdd, v89
	v_add_f16_e32 v11, v12, v11
	v_fma_f16 v12, v77, s28, v106
	v_add_f16_e32 v152, v51, v152
	v_fma_f16 v154, v67, s37, v153
	;; [unrolled: 2-line block ×3, first 2 shown]
	v_add_f16_e32 v152, v154, v152
	v_mul_f16_e32 v154, 0xb461, v91
	v_add_f16_e32 v9, v10, v9
	v_add_f16_e32 v11, v12, v11
	v_fma_f16 v12, v63, s17, -v108
	v_fma_f16 v155, v69, s26, v154
	v_add_f16_e32 v9, v13, v9
	v_add_f16_e32 v12, v21, v12
	v_fma_f16 v13, v64, s23, -v109
	v_add_f16_e32 v152, v155, v152
	v_mul_f16_e32 v155, 0x3b76, v93
	v_add_f16_e32 v12, v13, v12
	v_fma_f16 v13, v66, s25, -v110
	v_fma_f16 v156, v71, s34, v155
	v_add_f16_e32 v12, v13, v12
	v_fma_f16 v13, v68, s20, -v111
	v_add_f16_e32 v152, v156, v152
	v_mul_f16_e32 v156, 0x3722, v95
	v_add_f16_e32 v12, v13, v12
	v_fma_f16 v13, v70, s16, -v112
	v_fma_f16 v157, v73, s27, v156
	;; [unrolled: 7-line block ×3, first 2 shown]
	v_add_f16_e32 v12, v13, v12
	v_fma_f16 v13, v76, s24, -v115
	v_add_f16_e32 v152, v158, v152
	v_mul_f16_e32 v158, 0xb8d2, v98
	v_add_f16_e32 v12, v13, v12
	v_fma_f16 v13, v65, s22, v116
	v_fma_f16 v159, v77, s22, v158
	v_add_f16_e32 v9, v14, v9
	v_add_f16_e32 v13, v51, v13
	v_fma_f16 v14, v67, s35, v117
	v_add_f16_e32 v152, v159, v152
	v_mul_f16_e32 v159, 0x39e9, v99
	v_add_f16_e32 v13, v14, v13
	v_fma_f16 v14, v69, s34, v118
	v_fma_f16 v160, v78, s30, v159
	v_add_f16_e32 v13, v14, v13
	v_fma_f16 v14, v71, s18, v119
	v_add_f16_e32 v152, v160, v152
	v_mul_f16_e32 v160, 0xbbf7, v84
	v_add_f16_e32 v13, v14, v13
	v_fma_f16 v14, v73, s36, v120
	v_fma_f16 v161, v63, s25, v160
	v_mul_f16_e32 v162, 0xb1e1, v85
	v_add_f16_e32 v13, v14, v13
	v_fma_f16 v14, v75, s30, v121
	v_add_f16_e32 v161, v21, v161
	v_fma_f16 v163, v64, s14, v162
	;; [unrolled: 2-line block ×3, first 2 shown]
	v_add_f16_e32 v161, v163, v161
	v_mul_f16_e32 v163, 0x3bb2, v86
	v_add_f16_e32 v13, v14, v13
	v_fma_f16 v14, v78, s27, v123
	v_fma_f16 v164, v66, s24, v163
	v_add_f16_e32 v13, v14, v13
	v_fma_f16 v14, v63, s20, -v124
	v_add_f16_e32 v161, v164, v161
	v_mul_f16_e32 v164, 0x35c8, v88
	v_add_f16_e32 v14, v21, v14
	v_fma_f16 v22, v64, s24, -v126
	v_fma_f16 v165, v68, s16, v164
	v_add_f16_e32 v14, v22, v14
	v_fma_f16 v22, v66, s16, -v127
	v_add_f16_e32 v161, v165, v161
	v_mul_f16_e32 v165, 0xbb29, v90
	v_add_f16_e32 v14, v22, v14
	v_fma_f16 v22, v68, s17, -v128
	;; [unrolled: 7-line block ×4, first 2 shown]
	v_fma_f16 v168, v74, s20, v167
	v_add_f16_e32 v14, v22, v14
	v_fma_f16 v22, v65, s26, v133
	v_add_f16_e32 v161, v168, v161
	v_mul_f16_e32 v168, 0x3964, v96
	v_add_f16_e32 v22, v51, v22
	v_fma_f16 v23, v67, s31, v135
	v_fma_f16 v169, v76, s19, v168
	v_add_f16_e32 v22, v23, v22
	v_fma_f16 v23, v69, s28, v136
	v_add_f16_e32 v161, v169, v161
	v_mul_f16_e32 v169, 0x3722, v87
	v_add_f16_e32 v22, v23, v22
	v_fma_f16 v23, v71, s29, v137
	v_fma_f16 v170, v65, s27, v169
	v_mul_f16_e32 v171, 0xb8d2, v89
	v_add_f16_e32 v22, v23, v22
	v_fma_f16 v23, v73, s15, v138
	v_add_f16_e32 v170, v51, v170
	v_fma_f16 v172, v67, s38, v171
	;; [unrolled: 2-line block ×3, first 2 shown]
	v_add_f16_e32 v170, v172, v170
	v_mul_f16_e32 v172, 0xbbdd, v91
	v_add_f16_e32 v22, v23, v22
	v_fma_f16 v23, v77, s34, v140
	v_fma_f16 v173, v69, s15, v172
	v_add_f16_e32 v22, v23, v22
	v_fma_f16 v23, v78, s22, v141
	v_add_f16_e32 v170, v173, v170
	v_mul_f16_e32 v173, 0xb461, v93
	v_add_f16_e32 v22, v23, v22
	v_fma_f16 v23, v63, s24, -v142
	v_fma_f16 v174, v71, s26, v173
	v_add_f16_e32 v23, v21, v23
	v_fma_f16 v24, v64, s17, -v144
	v_add_f16_e32 v170, v174, v170
	v_mul_f16_e32 v174, 0x39e9, v95
	v_add_f16_e32 v23, v24, v23
	v_fma_f16 v24, v66, s19, -v145
	v_fma_f16 v175, v73, s30, v174
	v_add_f16_e32 v23, v24, v23
	v_fma_f16 v24, v68, s23, -v146
	;; [unrolled: 7-line block ×4, first 2 shown]
	v_add_f16_e32 v170, v177, v170
	v_mul_f16_e32 v177, 0xbacd, v99
	v_add_f16_e32 v23, v24, v23
	v_fma_f16 v24, v65, s33, v151
	v_fma_f16 v178, v78, s31, v177
	v_add_f16_e32 v24, v51, v24
	v_fma_f16 v25, v67, s15, v153
	v_add_f16_e32 v170, v178, v170
	v_mul_f16_e32 v178, 0xbb29, v84
	v_add_f16_e32 v24, v25, v24
	v_fma_f16 v25, v69, s35, v154
	v_fma_f16 v179, v63, s23, v178
	v_mul_f16_e32 v180, 0xba62, v85
	v_add_f16_e32 v24, v25, v24
	v_fma_f16 v25, v71, s21, v155
	v_add_f16_e32 v179, v21, v179
	v_fma_f16 v181, v64, s20, v180
	;; [unrolled: 2-line block ×3, first 2 shown]
	v_add_f16_e32 v179, v181, v179
	v_mul_f16_e32 v181, 0x31e1, v86
	v_add_f16_e32 v24, v25, v24
	v_fma_f16 v25, v75, s18, v157
	v_fma_f16 v182, v66, s14, v181
	v_add_f16_e32 v24, v25, v24
	v_fma_f16 v25, v77, s38, v158
	v_add_f16_e32 v179, v182, v179
	v_mul_f16_e32 v182, 0x3bb2, v88
	v_add_f16_e32 v24, v25, v24
	v_fma_f16 v25, v78, s28, v159
	v_fma_f16 v183, v68, s24, v182
	v_add_f16_e32 v24, v25, v24
	v_fma_f16 v25, v63, s25, -v160
	v_add_f16_e32 v179, v183, v179
	v_mul_f16_e32 v183, 0x3964, v90
	v_add_f16_e32 v25, v21, v25
	v_fma_f16 v26, v64, s14, -v162
	v_fma_f16 v184, v70, s19, v183
	v_add_f16_e32 v25, v26, v25
	v_fma_f16 v26, v66, s24, -v163
	v_add_f16_e32 v179, v184, v179
	v_mul_f16_e32 v184, 0xb5c8, v92
	v_add_f16_e32 v25, v26, v25
	v_fma_f16 v26, v68, s16, -v164
	v_fma_f16 v185, v72, s16, v184
	v_add_f16_e32 v25, v26, v25
	v_fma_f16 v26, v70, s23, -v165
	v_add_f16_e32 v179, v185, v179
	v_mul_f16_e32 v185, 0xbbf7, v94
	v_add_f16_e32 v25, v26, v25
	v_fma_f16 v26, v72, s17, -v166
	v_fma_f16 v186, v74, s25, v185
	v_add_f16_e32 v25, v26, v25
	v_fma_f16 v26, v74, s20, -v167
	v_add_f16_e32 v179, v186, v179
	v_mul_f16_e32 v186, 0xb836, v96
	v_add_f16_e32 v25, v26, v25
	v_fma_f16 v26, v76, s19, -v168
	v_fma_f16 v187, v76, s17, v186
	v_add_f16_e32 v25, v26, v25
	v_fma_f16 v26, v65, s29, v169
	v_add_f16_e32 v179, v187, v179
	v_mul_f16_e32 v187, 0x39e9, v87
	v_add_f16_e32 v26, v51, v26
	v_fma_f16 v27, v67, s22, v171
	v_fma_f16 v188, v65, s28, v187
	v_mul_f16_e32 v189, 0x2de8, v89
	v_add_f16_e32 v26, v27, v26
	v_fma_f16 v27, v69, s37, v172
	v_add_f16_e32 v188, v51, v188
	v_fma_f16 v190, v67, s36, v189
	;; [unrolled: 2-line block ×3, first 2 shown]
	v_add_f16_e32 v188, v190, v188
	v_mul_f16_e32 v190, 0xb8d2, v91
	v_add_f16_e32 v26, v27, v26
	v_fma_f16 v27, v73, s28, v174
	v_fma_f16 v191, v69, s38, v190
	v_add_f16_e32 v26, v27, v26
	v_fma_f16 v27, v75, s34, v175
	v_add_f16_e32 v188, v191, v188
	v_mul_f16_e32 v191, 0xbbdd, v93
	v_add_f16_e32 v26, v27, v26
	v_fma_f16 v27, v77, s33, v176
	v_fma_f16 v192, v71, s37, v191
	v_add_f16_e32 v26, v27, v26
	v_fma_f16 v27, v78, s18, v177
	v_add_f16_e32 v188, v192, v188
	v_mul_f16_e32 v192, 0xbacd, v95
	v_add_f16_e32 v26, v27, v26
	v_fma_f16 v27, v63, s23, -v178
	v_fma_f16 v193, v73, s18, v192
	v_add_f16_e32 v27, v21, v27
	v_fma_f16 v28, v64, s20, -v180
	v_add_f16_e32 v188, v193, v188
	v_mul_f16_e32 v193, 0xb461, v97
	v_add_f16_e32 v27, v28, v27
	v_fma_f16 v28, v66, s14, -v181
	v_fma_f16 v194, v75, s26, v193
	v_add_f16_e32 v27, v28, v27
	v_fma_f16 v28, v68, s24, -v182
	;; [unrolled: 7-line block ×4, first 2 shown]
	v_add_f16_e32 v188, v196, v188
	v_mul_f16_e32 v196, 0xb964, v84
	v_add_f16_e32 v27, v28, v27
	v_fma_f16 v28, v65, s30, v187
	v_fma_f16 v197, v63, s19, v196
	v_mul_f16_e32 v198, 0xbbf7, v85
	v_add_f16_e32 v28, v51, v28
	v_fma_f16 v29, v67, s33, v189
	v_add_f16_e32 v197, v21, v197
	v_fma_f16 v199, v64, s25, v198
	;; [unrolled: 2-line block ×3, first 2 shown]
	v_add_f16_e32 v197, v199, v197
	v_mul_f16_e32 v199, 0xba62, v86
	v_add_f16_e32 v28, v29, v28
	v_fma_f16 v29, v71, s15, v191
	v_fma_f16 v200, v66, s20, v199
	v_add_f16_e32 v28, v29, v28
	v_fma_f16 v29, v73, s31, v192
	v_add_f16_e32 v197, v200, v197
	v_mul_f16_e32 v200, 0xb1e1, v88
	v_add_f16_e32 v28, v29, v28
	v_fma_f16 v29, v75, s35, v193
	v_fma_f16 v201, v68, s14, v200
	v_add_f16_e32 v28, v29, v28
	v_fma_f16 v29, v77, s27, v194
	v_add_f16_e32 v197, v201, v197
	v_mul_f16_e32 v201, 0x3836, v90
	v_add_f16_e32 v28, v29, v28
	v_fma_f16 v29, v78, s21, v195
	v_fma_f16 v202, v70, s17, v201
	v_add_f16_e32 v28, v29, v28
	v_fma_f16 v29, v63, s19, -v196
	v_add_f16_e32 v197, v202, v197
	v_mul_f16_e32 v202, 0x3bb2, v92
	v_add_f16_e32 v29, v21, v29
	v_fma_f16 v30, v64, s25, -v198
	v_fma_f16 v203, v72, s24, v202
	v_add_f16_e32 v29, v30, v29
	v_fma_f16 v30, v66, s20, -v199
	v_add_f16_e32 v197, v203, v197
	v_mul_f16_e32 v203, 0x3b29, v94
	v_add_f16_e32 v29, v30, v29
	v_fma_f16 v30, v68, s14, -v200
	;; [unrolled: 7-line block ×3, first 2 shown]
	v_fma_f16 v205, v76, s16, v204
	v_mul_f16_e32 v87, 0x3b76, v87
	v_add_f16_e32 v29, v30, v29
	v_fma_f16 v30, v74, s23, -v203
	v_add_f16_e32 v197, v205, v197
	v_fma_f16 v205, v65, s21, v87
	v_mul_f16_e32 v89, 0x39e9, v89
	v_add_f16_e32 v29, v30, v29
	v_fma_f16 v30, v76, s16, -v204
	v_add_f16_e32 v205, v51, v205
	v_fma_f16 v206, v67, s28, v89
	v_mul_f16_e32 v91, 0x3722, v91
	v_add_f16_e32 v10, v54, v51
	v_add_f16_e32 v29, v30, v29
	v_fma_f16 v30, v65, s34, v87
	v_add_f16_e32 v205, v206, v205
	v_fma_f16 v206, v69, s27, v91
	v_mul_f16_e32 v93, 0x2de8, v93
	v_add_f16_e32 v9, v34, v9
	v_add_f16_e32 v10, v55, v10
	v_add_f16_e32 v30, v51, v30
	v_fma_f16 v34, v67, s30, v89
	v_add_f16_e32 v205, v206, v205
	v_fma_f16 v206, v71, s36, v93
	v_mul_f16_e32 v95, 0xb461, v95
	v_add_f16_e32 v10, v53, v10
	v_add_f16_e32 v30, v34, v30
	v_fma_f16 v34, v69, s29, v91
	v_add_f16_e32 v205, v206, v205
	v_fma_f16 v206, v73, s35, v95
	v_mul_f16_e32 v97, 0xb8d2, v97
	v_add_f16_e32 v10, v56, v10
	v_add_f16_e32 v30, v34, v30
	;; [unrolled: 6-line block ×7, first 2 shown]
	v_fma_f16 v34, v63, s16, -v84
	v_add_f16_e32 v206, v207, v206
	v_fma_f16 v207, v66, s23, v86
	v_mul_f16_e32 v88, 0xbbf7, v88
	v_add_f16_e32 v10, v35, v10
	v_add_f16_e32 v21, v21, v34
	v_fma_f16 v34, v64, s19, -v85
	v_add_f16_e32 v206, v207, v206
	v_fma_f16 v207, v68, s25, v88
	v_mul_f16_e32 v90, 0xbbb2, v90
	v_add_f16_e32 v10, v38, v10
	v_add_f16_e32 v21, v34, v21
	;; [unrolled: 6-line block ×5, first 2 shown]
	v_fma_f16 v34, v72, s20, -v92
	v_add_f16_e32 v206, v207, v206
	v_fma_f16 v207, v76, s14, v96
	v_add_f16_e32 v10, v36, v10
	v_add_f16_e32 v21, v34, v21
	v_fma_f16 v34, v74, s17, -v94
	v_add_f16_e32 v206, v207, v206
	v_add_f16_e32 v10, v41, v10
	;; [unrolled: 1-line block ×3, first 2 shown]
	v_fma_f16 v34, v76, s14, -v96
	v_add_f16_e32 v21, v34, v21
	v_lshlrev_b32_e32 v33, 2, v33
	v_pack_b32_f16 v34, v206, v205
	v_pack_b32_f16 v9, v9, v10
	ds_write2_b32 v33, v9, v34 offset1:1
	v_pack_b32_f16 v9, v179, v170
	v_pack_b32_f16 v10, v197, v188
	ds_write2_b32 v33, v10, v9 offset0:2 offset1:3
	v_pack_b32_f16 v9, v143, v134
	v_pack_b32_f16 v10, v161, v152
	ds_write2_b32 v33, v10, v9 offset0:4 offset1:5
	v_pack_b32_f16 v9, v82, v81
	v_pack_b32_f16 v10, v125, v83
	s_mov_b32 s14, 0x5040100
	ds_write2_b32 v33, v10, v9 offset0:6 offset1:7
	v_pack_b32_f16 v9, v80, v79
	v_perm_b32 v10, v59, v58, s14
	ds_write2_b32 v33, v9, v10 offset0:8 offset1:9
	v_pack_b32_f16 v9, v14, v13
	v_pack_b32_f16 v10, v12, v11
	ds_write2_b32 v33, v10, v9 offset0:10 offset1:11
	v_pack_b32_f16 v9, v25, v24
	v_pack_b32_f16 v10, v23, v22
	;; [unrolled: 3-line block ×3, first 2 shown]
	ds_write2_b32 v33, v10, v9 offset0:14 offset1:15
	v_pack_b32_f16 v9, v21, v30
	ds_write_b32 v33, v9 offset:64
.LBB0_17:
	s_or_b64 exec, exec, s[4:5]
	s_waitcnt lgkmcnt(0)
	s_barrier
	ds_read2_b32 v[12:13], v31 offset1:102
	v_add_u32_e32 v14, 0x200, v31
	ds_read2_b32 v[10:11], v14 offset0:76 offset1:178
	v_add_u32_e32 v9, 0x400, v31
	ds_read2_b32 v[21:22], v9 offset0:152 offset1:254
	s_waitcnt lgkmcnt(2)
	v_lshrrev_b32_e32 v26, 16, v13
	v_mul_f16_sdwa v38, v0, v26 dst_sel:DWORD dst_unused:UNUSED_PAD src0_sel:WORD_1 src1_sel:DWORD
	s_waitcnt lgkmcnt(1)
	v_lshrrev_b32_e32 v27, 16, v10
	v_fma_f16 v38, v0, v13, v38
	v_mul_f16_sdwa v13, v0, v13 dst_sel:DWORD dst_unused:UNUSED_PAD src0_sel:WORD_1 src1_sel:DWORD
	v_fma_f16 v0, v0, v26, -v13
	v_mul_f16_sdwa v13, v1, v27 dst_sel:DWORD dst_unused:UNUSED_PAD src0_sel:WORD_1 src1_sel:DWORD
	v_add_u32_e32 v28, 0x800, v31
	v_lshrrev_b32_e32 v29, 16, v11
	v_fma_f16 v13, v1, v10, v13
	v_mul_f16_sdwa v10, v1, v10 dst_sel:DWORD dst_unused:UNUSED_PAD src0_sel:WORD_1 src1_sel:DWORD
	ds_read2_b32 v[23:24], v28 offset0:100 offset1:202
	v_fma_f16 v1, v1, v27, -v10
	v_mul_f16_sdwa v10, v2, v29 dst_sel:DWORD dst_unused:UNUSED_PAD src0_sel:WORD_1 src1_sel:DWORD
	s_waitcnt lgkmcnt(1)
	v_lshrrev_b32_e32 v33, 16, v21
	v_fma_f16 v10, v2, v11, v10
	v_mul_f16_sdwa v11, v2, v11 dst_sel:DWORD dst_unused:UNUSED_PAD src0_sel:WORD_1 src1_sel:DWORD
	ds_read_b32 v30, v31 offset:3264
	v_fma_f16 v2, v2, v29, -v11
	v_mul_f16_sdwa v11, v3, v33 dst_sel:DWORD dst_unused:UNUSED_PAD src0_sel:WORD_1 src1_sel:DWORD
	v_lshrrev_b32_e32 v34, 16, v22
	v_fma_f16 v26, v3, v21, v11
	v_mul_f16_sdwa v11, v3, v21 dst_sel:DWORD dst_unused:UNUSED_PAD src0_sel:WORD_1 src1_sel:DWORD
	v_fma_f16 v3, v3, v33, -v11
	v_mul_f16_sdwa v11, v4, v34 dst_sel:DWORD dst_unused:UNUSED_PAD src0_sel:WORD_1 src1_sel:DWORD
	s_waitcnt lgkmcnt(1)
	v_lshrrev_b32_e32 v35, 16, v23
	v_fma_f16 v21, v4, v22, v11
	v_mul_f16_sdwa v11, v4, v22 dst_sel:DWORD dst_unused:UNUSED_PAD src0_sel:WORD_1 src1_sel:DWORD
	v_lshrrev_b32_e32 v36, 16, v24
	v_fma_f16 v4, v4, v34, -v11
	v_mul_f16_sdwa v11, v5, v35 dst_sel:DWORD dst_unused:UNUSED_PAD src0_sel:WORD_1 src1_sel:DWORD
	v_mul_f16_sdwa v22, v5, v23 dst_sel:DWORD dst_unused:UNUSED_PAD src0_sel:WORD_1 src1_sel:DWORD
	s_waitcnt lgkmcnt(0)
	v_lshrrev_b32_e32 v37, 16, v30
	v_fma_f16 v11, v5, v23, v11
	v_fma_f16 v5, v5, v35, -v22
	v_mul_f16_sdwa v22, v6, v36 dst_sel:DWORD dst_unused:UNUSED_PAD src0_sel:WORD_1 src1_sel:DWORD
	v_mul_f16_sdwa v23, v6, v24 dst_sel:DWORD dst_unused:UNUSED_PAD src0_sel:WORD_1 src1_sel:DWORD
	v_fma_f16 v22, v6, v24, v22
	v_fma_f16 v6, v6, v36, -v23
	v_mul_f16_sdwa v23, v7, v37 dst_sel:DWORD dst_unused:UNUSED_PAD src0_sel:WORD_1 src1_sel:DWORD
	v_mul_f16_sdwa v24, v7, v30 dst_sel:DWORD dst_unused:UNUSED_PAD src0_sel:WORD_1 src1_sel:DWORD
	v_fma_f16 v23, v7, v30, v23
	v_fma_f16 v7, v7, v37, -v24
	v_lshrrev_b32_e32 v25, 16, v12
	v_add_f16_e32 v24, v38, v23
	v_add_f16_e32 v27, v0, v7
	v_sub_f16_e32 v23, v38, v23
	s_movk_i32 s15, 0x3a21
	v_add_f16_e32 v30, v1, v6
	v_add_f16_e32 v34, v2, v5
	v_sub_f16_e32 v0, v0, v7
	v_sub_f16_e32 v7, v13, v22
	;; [unrolled: 1-line block ×3, first 2 shown]
	v_mul_f16_e32 v5, 0x3924, v23
	s_movk_i32 s4, 0x3be1
	v_fma_f16 v35, v27, s15, v25
	s_movk_i32 s16, 0x318f
	v_add_f16_e32 v29, v13, v22
	v_add_f16_e32 v33, v10, v11
	v_sub_f16_e32 v1, v1, v6
	v_sub_f16_e32 v6, v10, v11
	v_mul_f16_e32 v10, 0x3924, v0
	v_fma_f16 v5, v7, s4, v5
	s_movk_i32 s5, 0x3aee
	v_fma_f16 v11, v24, s15, v12
	v_fma_f16 v35, v30, s16, v35
	;; [unrolled: 1-line block ×4, first 2 shown]
	v_sub_f16_e32 v13, v26, v21
	s_movk_i32 s14, 0x3579
	v_fma_f16 v11, v29, s16, v11
	v_fma_f16 v35, v34, -0.5, v35
	v_add_f16_e32 v37, v3, v4
	s_mov_b32 s17, 0xbb84
	v_fma_f16 v10, v2, s5, v10
	v_sub_f16_e32 v22, v3, v4
	v_fma_f16 v5, v13, s14, v5
	v_fma_f16 v11, v33, -0.5, v11
	v_add_f16_e32 v36, v26, v21
	v_fma_f16 v35, v37, s17, v35
	v_fma_f16 v10, v22, s14, v10
	;; [unrolled: 1-line block ×3, first 2 shown]
	v_add_f16_e32 v35, v5, v35
	v_sub_f16_e32 v38, v11, v10
	v_fma_f16 v11, v5, -2.0, v35
	v_mul_f16_e32 v5, 0xb924, v13
	v_mul_f16_e32 v39, 0xb924, v22
	v_fma_f16 v5, v23, s4, v5
	v_fma_f16 v39, v0, s4, v39
	s_mov_b32 s4, 0xbaee
	s_mov_b32 s18, 0xb924
	v_fma_f16 v5, v6, s4, v5
	v_add_f16_e32 v51, v13, v23
	v_mul_f16_e32 v13, 0x3be1, v13
	v_fma_f16 v39, v2, s4, v39
	v_fma_f16 v5, v7, s14, v5
	v_add_f16_e32 v52, v22, v0
	v_sub_f16_e32 v51, v51, v7
	v_mul_f16_e32 v22, 0x3be1, v22
	v_fma_f16 v7, v7, s18, -v13
	v_fma_f16 v39, v1, s14, v39
	v_sub_f16_e32 v52, v52, v1
	v_add_f16_e32 v60, v30, v27
	v_fma_f16 v1, v1, s18, -v22
	v_fma_f16 v6, v6, s5, v7
	v_fma_f16 v1, v2, s5, v1
	;; [unrolled: 1-line block ×3, first 2 shown]
	v_add_f16_e32 v6, v34, v60
	v_add_f16_e32 v57, v29, v24
	;; [unrolled: 1-line block ×3, first 2 shown]
	v_fma_f16 v40, v36, s15, v12
	v_fma_f16 v41, v37, s15, v25
	;; [unrolled: 1-line block ×3, first 2 shown]
	v_add_f16_e32 v1, v33, v57
	v_add_f16_e32 v3, v4, v3
	v_fma_f16 v4, v29, s15, v12
	v_fma_f16 v6, v30, s15, v25
	;; [unrolled: 1-line block ×4, first 2 shown]
	v_add_f16_e32 v1, v26, v1
	v_fma_f16 v4, v36, s16, v4
	v_fma_f16 v6, v37, s16, v6
	v_fma_f16 v40, v33, -0.5, v40
	v_fma_f16 v41, v34, -0.5, v41
	v_add_f16_e32 v55, v33, v12
	v_add_f16_e32 v56, v34, v25
	;; [unrolled: 1-line block ×5, first 2 shown]
	v_fma_f16 v4, v33, -0.5, v4
	v_fma_f16 v6, v34, -0.5, v6
	v_fma_f16 v40, v29, s17, v40
	v_fma_f16 v41, v30, s17, v41
	v_fma_f16 v55, v61, -0.5, v55
	v_fma_f16 v56, v62, -0.5, v56
	v_add_f16_e32 v1, v1, v12
	v_add_f16_e32 v3, v3, v25
	v_fma_f16 v4, v24, s17, v4
	v_fma_f16 v6, v27, s17, v6
	v_sub_f16_e32 v40, v40, v39
	v_add_f16_e32 v41, v5, v41
	v_mul_f16_e32 v53, 0x3aee, v51
	v_mul_f16_e32 v54, 0x3aee, v52
	v_fma_f16 v52, v52, s4, v55
	v_fma_f16 v51, v51, s5, v56
	v_sub_f16_e32 v4, v4, v0
	v_add_f16_e32 v6, v2, v6
	v_pack_b32_f16 v1, v1, v3
	v_pack_b32_f16 v3, v38, v35
	v_fma_f16 v0, v0, 2.0, v4
	v_fma_f16 v2, v2, -2.0, v6
	s_barrier
	ds_write2_b32 v42, v1, v3 offset1:17
	v_pack_b32_f16 v1, v40, v41
	v_pack_b32_f16 v3, v52, v51
	v_fma_f16 v39, v39, 2.0, v40
	v_fma_f16 v5, v5, -2.0, v41
	v_fma_f16 v54, v54, 2.0, v52
	v_fma_f16 v53, v53, -2.0, v51
	ds_write2_b32 v42, v1, v3 offset0:34 offset1:51
	v_pack_b32_f16 v1, v4, v6
	v_pack_b32_f16 v0, v0, v2
	v_fma_f16 v10, v10, 2.0, v38
	ds_write2_b32 v42, v1, v0 offset0:68 offset1:85
	v_pack_b32_f16 v0, v54, v53
	v_pack_b32_f16 v1, v39, v5
	ds_write2_b32 v42, v0, v1 offset0:102 offset1:119
	v_pack_b32_f16 v0, v10, v11
	ds_write_b32 v42, v0 offset:544
	v_add_u32_e32 v0, 0x600, v31
	s_waitcnt lgkmcnt(0)
	s_barrier
	ds_read2_b32 v[2:3], v31 offset1:102
	ds_read2_b32 v[6:7], v0 offset0:75 offset1:177
	ds_read2_b32 v[0:1], v14 offset0:76 offset1:178
	;; [unrolled: 1-line block ×3, first 2 shown]
	s_and_saveexec_b64 s[4:5], s[2:3]
	s_cbranch_execz .LBB0_19
; %bb.18:
	ds_read_b32 v10, v31 offset:1632
	ds_read_b32 v58, v31 offset:3468
	s_waitcnt lgkmcnt(1)
	v_lshrrev_b32_e32 v11, 16, v10
	s_waitcnt lgkmcnt(0)
	v_lshrrev_b32_e32 v59, 16, v58
.LBB0_19:
	s_or_b64 exec, exec, s[4:5]
	s_waitcnt lgkmcnt(2)
	v_lshrrev_b32_e32 v13, 16, v6
	v_mul_f16_sdwa v26, v46, v13 dst_sel:DWORD dst_unused:UNUSED_PAD src0_sel:WORD_1 src1_sel:DWORD
	v_lshrrev_b32_e32 v21, 16, v7
	v_fma_f16 v26, v46, v6, v26
	v_mul_f16_sdwa v6, v46, v6 dst_sel:DWORD dst_unused:UNUSED_PAD src0_sel:WORD_1 src1_sel:DWORD
	v_fma_f16 v6, v46, v13, -v6
	v_mul_f16_sdwa v13, v48, v21 dst_sel:DWORD dst_unused:UNUSED_PAD src0_sel:WORD_1 src1_sel:DWORD
	s_waitcnt lgkmcnt(0)
	v_lshrrev_b32_e32 v23, 16, v4
	v_fma_f16 v13, v48, v7, v13
	v_mul_f16_sdwa v7, v48, v7 dst_sel:DWORD dst_unused:UNUSED_PAD src0_sel:WORD_1 src1_sel:DWORD
	v_fma_f16 v7, v48, v21, -v7
	v_mul_f16_sdwa v21, v47, v23 dst_sel:DWORD dst_unused:UNUSED_PAD src0_sel:WORD_1 src1_sel:DWORD
	v_lshrrev_b32_e32 v25, 16, v5
	v_fma_f16 v21, v47, v4, v21
	v_mul_f16_sdwa v4, v47, v4 dst_sel:DWORD dst_unused:UNUSED_PAD src0_sel:WORD_1 src1_sel:DWORD
	v_fma_f16 v4, v47, v23, -v4
	v_mul_f16_sdwa v23, v49, v25 dst_sel:DWORD dst_unused:UNUSED_PAD src0_sel:WORD_1 src1_sel:DWORD
	v_lshrrev_b32_e32 v12, 16, v2
	v_fma_f16 v23, v49, v5, v23
	v_mul_f16_sdwa v5, v49, v5 dst_sel:DWORD dst_unused:UNUSED_PAD src0_sel:WORD_1 src1_sel:DWORD
	v_lshrrev_b32_e32 v14, 16, v3
	v_fma_f16 v5, v49, v25, -v5
	v_sub_f16_e32 v25, v2, v26
	v_sub_f16_e32 v6, v12, v6
	v_lshrrev_b32_e32 v22, 16, v0
	v_fma_f16 v2, v2, 2.0, -v25
	v_fma_f16 v12, v12, 2.0, -v6
	v_sub_f16_e32 v13, v3, v13
	v_sub_f16_e32 v7, v14, v7
	v_lshrrev_b32_e32 v24, 16, v1
	v_fma_f16 v3, v3, 2.0, -v13
	v_fma_f16 v14, v14, 2.0, -v7
	v_sub_f16_e32 v21, v0, v21
	v_sub_f16_e32 v4, v22, v4
	v_pack_b32_f16 v2, v2, v12
	v_pack_b32_f16 v6, v25, v6
	v_fma_f16 v0, v0, 2.0, -v21
	v_fma_f16 v22, v22, 2.0, -v4
	v_sub_f16_e32 v23, v1, v23
	v_sub_f16_e32 v5, v24, v5
	s_barrier
	ds_write2_b32 v31, v2, v6 offset1:153
	v_pack_b32_f16 v2, v3, v14
	v_pack_b32_f16 v3, v13, v7
	v_fma_f16 v1, v1, 2.0, -v23
	v_fma_f16 v24, v24, 2.0, -v5
	ds_write2_b32 v50, v2, v3 offset1:153
	v_pack_b32_f16 v0, v0, v22
	v_pack_b32_f16 v2, v21, v4
	ds_write2_b32 v9, v0, v2 offset0:101 offset1:254
	v_pack_b32_f16 v0, v1, v24
	v_pack_b32_f16 v1, v23, v5
	v_add_u32_e32 v2, 0x800, v45
	ds_write2_b32 v2, v0, v1 offset0:100 offset1:253
	s_and_saveexec_b64 s[4:5], s[2:3]
	s_cbranch_execz .LBB0_21
; %bb.20:
	v_mul_f16_sdwa v0, v44, v59 dst_sel:DWORD dst_unused:UNUSED_PAD src0_sel:WORD_1 src1_sel:DWORD
	v_mul_f16_sdwa v2, v44, v58 dst_sel:DWORD dst_unused:UNUSED_PAD src0_sel:WORD_1 src1_sel:DWORD
	v_fma_f16 v0, v44, v58, v0
	v_fma_f16 v2, v44, v59, -v2
	v_sub_f16_e32 v0, v10, v0
	v_sub_f16_e32 v2, v11, v2
	v_fma_f16 v1, v10, 2.0, -v0
	v_fma_f16 v3, v11, 2.0, -v2
	v_pack_b32_f16 v1, v1, v3
	v_pack_b32_f16 v0, v0, v2
	v_add_u32_e32 v2, 0x800, v43
	ds_write2_b32 v2, v1, v0 offset0:100 offset1:253
.LBB0_21:
	s_or_b64 exec, exec, s[4:5]
	v_add_u32_e32 v0, 0x200, v31
	s_waitcnt lgkmcnt(0)
	s_barrier
	ds_read2_b32 v[5:6], v0 offset0:76 offset1:178
	v_add_u32_e32 v1, 0x800, v31
	ds_read2_b32 v[9:10], v1 offset0:100 offset1:202
	v_add_u32_e32 v2, 0x400, v31
	ds_read2_b32 v[11:12], v2 offset0:152 offset1:254
	s_waitcnt lgkmcnt(2)
	v_lshrrev_b32_e32 v13, 16, v6
	ds_read_b32 v22, v31 offset:3264
	v_mul_f16_sdwa v28, v15, v13 dst_sel:DWORD dst_unused:UNUSED_PAD src0_sel:WORD_1 src1_sel:DWORD
	s_waitcnt lgkmcnt(2)
	v_lshrrev_b32_e32 v14, 16, v9
	v_fma_f16 v28, v15, v6, v28
	v_mul_f16_sdwa v6, v15, v6 dst_sel:DWORD dst_unused:UNUSED_PAD src0_sel:WORD_1 src1_sel:DWORD
	v_fma_f16 v6, v15, v13, -v6
	v_mul_f16_sdwa v13, v16, v14 dst_sel:DWORD dst_unused:UNUSED_PAD src0_sel:WORD_1 src1_sel:DWORD
	ds_read2_b32 v[3:4], v31 offset1:102
	s_waitcnt lgkmcnt(2)
	v_lshrrev_b32_e32 v23, 16, v11
	v_lshrrev_b32_e32 v24, 16, v10
	v_fma_f16 v13, v16, v9, v13
	v_mul_f16_sdwa v9, v16, v9 dst_sel:DWORD dst_unused:UNUSED_PAD src0_sel:WORD_1 src1_sel:DWORD
	v_fma_f16 v9, v16, v14, -v9
	v_mul_f16_sdwa v14, v17, v23 dst_sel:DWORD dst_unused:UNUSED_PAD src0_sel:WORD_1 src1_sel:DWORD
	v_mul_f16_sdwa v15, v18, v24 dst_sel:DWORD dst_unused:UNUSED_PAD src0_sel:WORD_1 src1_sel:DWORD
	v_lshrrev_b32_e32 v26, 16, v12
	s_waitcnt lgkmcnt(1)
	v_lshrrev_b32_e32 v27, 16, v22
	v_fma_f16 v14, v17, v11, v14
	v_mul_f16_sdwa v11, v17, v11 dst_sel:DWORD dst_unused:UNUSED_PAD src0_sel:WORD_1 src1_sel:DWORD
	v_fma_f16 v15, v18, v10, v15
	v_mul_f16_sdwa v10, v18, v10 dst_sel:DWORD dst_unused:UNUSED_PAD src0_sel:WORD_1 src1_sel:DWORD
	v_fma_f16 v11, v17, v23, -v11
	v_fma_f16 v10, v18, v24, -v10
	v_mul_f16_sdwa v16, v19, v26 dst_sel:DWORD dst_unused:UNUSED_PAD src0_sel:WORD_1 src1_sel:DWORD
	v_mul_f16_sdwa v17, v20, v27 dst_sel:DWORD dst_unused:UNUSED_PAD src0_sel:WORD_1 src1_sel:DWORD
	;; [unrolled: 1-line block ×3, first 2 shown]
	v_fma_f16 v16, v19, v12, v16
	v_mul_f16_sdwa v12, v19, v12 dst_sel:DWORD dst_unused:UNUSED_PAD src0_sel:WORD_1 src1_sel:DWORD
	v_fma_f16 v17, v20, v22, v17
	v_fma_f16 v18, v20, v27, -v18
	v_add_f16_e32 v20, v28, v13
	s_waitcnt lgkmcnt(0)
	v_lshrrev_b32_e32 v7, 16, v3
	v_fma_f16 v12, v19, v26, -v12
	v_add_f16_e32 v19, v3, v28
	v_fma_f16 v3, v20, -0.5, v3
	v_sub_f16_e32 v20, v6, v9
	s_mov_b32 s2, 0xbaee
	s_movk_i32 s3, 0x3aee
	v_fma_f16 v22, v20, s2, v3
	v_fma_f16 v3, v20, s3, v3
	v_add_f16_e32 v20, v7, v6
	v_add_f16_e32 v6, v6, v9
	;; [unrolled: 1-line block ×3, first 2 shown]
	v_fma_f16 v6, v6, -0.5, v7
	v_sub_f16_e32 v7, v28, v13
	v_add_f16_e32 v13, v14, v15
	v_lshrrev_b32_e32 v21, 16, v4
	v_add_f16_e32 v20, v20, v9
	v_fma_f16 v9, v7, s3, v6
	v_fma_f16 v6, v7, s2, v6
	v_add_f16_e32 v7, v4, v14
	v_fma_f16 v4, v13, -0.5, v4
	v_sub_f16_e32 v13, v11, v10
	v_fma_f16 v23, v13, s2, v4
	v_fma_f16 v4, v13, s3, v4
	v_add_f16_e32 v13, v21, v11
	v_add_f16_e32 v13, v13, v10
	;; [unrolled: 1-line block ×4, first 2 shown]
	v_fma_f16 v10, v10, -0.5, v21
	v_sub_f16_e32 v11, v14, v15
	v_add_f16_e32 v15, v16, v17
	v_lshrrev_b32_e32 v25, 16, v5
	v_fma_f16 v14, v11, s3, v10
	v_fma_f16 v10, v11, s2, v10
	v_add_f16_e32 v11, v5, v16
	v_fma_f16 v5, v15, -0.5, v5
	v_sub_f16_e32 v15, v12, v18
	v_fma_f16 v21, v15, s2, v5
	v_fma_f16 v5, v15, s3, v5
	v_add_f16_e32 v15, v25, v12
	v_add_f16_e32 v12, v12, v18
	;; [unrolled: 1-line block ×4, first 2 shown]
	v_fma_f16 v12, v12, -0.5, v25
	v_sub_f16_e32 v16, v16, v17
	v_pack_b32_f16 v3, v3, v6
	v_pack_b32_f16 v4, v4, v10
	v_fma_f16 v17, v16, s3, v12
	v_fma_f16 v12, v16, s2, v12
	v_pack_b32_f16 v16, v19, v20
	v_pack_b32_f16 v9, v22, v9
	;; [unrolled: 1-line block ×3, first 2 shown]
	ds_write2_b32 v1, v3, v4 offset0:100 offset1:202
	v_pack_b32_f16 v3, v11, v15
	ds_write2_b32 v31, v16, v6 offset1:102
	v_pack_b32_f16 v6, v23, v14
	ds_write2_b32 v0, v3, v9 offset0:76 offset1:178
	v_pack_b32_f16 v0, v21, v17
	ds_write2_b32 v2, v6, v0 offset0:152 offset1:254
	v_pack_b32_f16 v0, v5, v12
	ds_write_b32 v31, v0 offset:3264
	s_waitcnt lgkmcnt(0)
	s_barrier
	s_and_b64 exec, exec, s[0:1]
	s_cbranch_execz .LBB0_23
; %bb.22:
	global_load_dword v10, v31, s[6:7]
	ds_read_b32 v11, v31
	v_mad_u64_u32 v[3:4], s[0:1], s10, v8, 0
	v_mad_u64_u32 v[5:6], s[0:1], s8, v32, 0
	s_mov_b32 s14, 0x672e4abd
	s_mov_b32 s15, 0x3f51d8f5
	v_mad_u64_u32 v[7:8], s[0:1], s11, v8, v[4:5]
	v_mov_b32_e32 v12, s13
	s_movk_i32 s16, 0x1ff
	v_mad_u64_u32 v[8:9], s[0:1], s9, v32, v[6:7]
	s_waitcnt lgkmcnt(0)
	v_lshrrev_b32_e32 v9, 16, v11
	v_mov_b32_e32 v4, v7
	v_mov_b32_e32 v6, v8
	v_lshlrev_b64 v[3:4], 2, v[3:4]
	v_lshlrev_b64 v[5:6], 2, v[5:6]
	s_movk_i32 s10, 0xffe
	v_mov_b32_e32 v0, 0x7c00
	s_movk_i32 s18, 0x40f
	s_mov_b32 s17, 0x8000
	s_waitcnt vmcnt(0)
	v_mul_f16_sdwa v7, v9, v10 dst_sel:DWORD dst_unused:UNUSED_PAD src0_sel:DWORD src1_sel:WORD_1
	v_fma_f16 v7, v11, v10, v7
	v_mul_f16_sdwa v8, v11, v10 dst_sel:DWORD dst_unused:UNUSED_PAD src0_sel:DWORD src1_sel:WORD_1
	v_cvt_f32_f16_e32 v7, v7
	v_fma_f16 v8, v10, v9, -v8
	v_cvt_f32_f16_e32 v9, v8
	v_add_co_u32_e32 v11, vcc, s12, v3
	v_cvt_f64_f32_e32 v[7:8], v7
	v_cvt_f64_f32_e32 v[9:10], v9
	v_addc_co_u32_e32 v12, vcc, v12, v4, vcc
	v_mul_f64 v[7:8], v[7:8], s[14:15]
	v_mul_f64 v[3:4], v[9:10], s[14:15]
	v_add_co_u32_e32 v5, vcc, v11, v5
	v_addc_co_u32_e32 v6, vcc, v12, v6, vcc
	v_and_or_b32 v7, v8, s16, v7
	v_and_or_b32 v3, v4, s16, v3
	v_cmp_ne_u32_e32 vcc, 0, v7
	v_lshrrev_b32_e32 v9, 8, v8
	v_bfe_u32 v10, v8, 20, 11
	v_cndmask_b32_e64 v7, 0, 1, vcc
	v_cmp_ne_u32_e32 vcc, 0, v3
	v_lshrrev_b32_e32 v11, 8, v4
	v_bfe_u32 v12, v4, 20, 11
	v_sub_u32_e32 v13, 0x3f1, v10
	v_cndmask_b32_e64 v3, 0, 1, vcc
	v_and_or_b32 v7, v9, s10, v7
	v_sub_u32_e32 v14, 0x3f1, v12
	v_med3_i32 v9, v13, 0, 13
	v_and_or_b32 v3, v11, s10, v3
	v_or_b32_e32 v13, 0x1000, v7
	v_add_u32_e32 v10, 0xfffffc10, v10
	v_med3_i32 v11, v14, 0, 13
	v_cmp_ne_u32_e32 vcc, 0, v7
	v_or_b32_e32 v15, 0x1000, v3
	v_lshrrev_b32_e32 v17, v9, v13
	v_add_u32_e32 v12, 0xfffffc10, v12
	v_lshl_or_b32 v14, v10, 12, v7
	v_cndmask_b32_e64 v7, 0, 1, vcc
	v_cmp_ne_u32_e32 vcc, 0, v3
	v_lshrrev_b32_e32 v18, v11, v15
	v_lshlrev_b32_e32 v9, v9, v17
	v_lshl_or_b32 v16, v12, 12, v3
	v_cndmask_b32_e64 v3, 0, 1, vcc
	v_lshlrev_b32_e32 v11, v11, v18
	v_cmp_ne_u32_e32 vcc, v9, v13
	v_cndmask_b32_e64 v9, 0, 1, vcc
	v_cmp_ne_u32_e32 vcc, v11, v15
	v_cndmask_b32_e64 v11, 0, 1, vcc
	v_or_b32_e32 v9, v17, v9
	v_cmp_gt_i32_e32 vcc, 1, v10
	v_cndmask_b32_e32 v9, v14, v9, vcc
	v_or_b32_e32 v11, v18, v11
	v_cmp_gt_i32_e32 vcc, 1, v12
	v_and_b32_e32 v13, 7, v9
	v_cndmask_b32_e32 v11, v16, v11, vcc
	v_cmp_lt_i32_e32 vcc, 5, v13
	v_cmp_eq_u32_e64 s[0:1], 3, v13
	v_lshrrev_b32_e32 v9, 2, v9
	v_and_b32_e32 v14, 7, v11
	s_or_b64 vcc, s[0:1], vcc
	v_cmp_lt_i32_e64 s[2:3], 5, v14
	v_cmp_eq_u32_e64 s[4:5], 3, v14
	v_addc_co_u32_e32 v9, vcc, 0, v9, vcc
	v_lshrrev_b32_e32 v11, 2, v11
	s_or_b64 vcc, s[4:5], s[2:3]
	v_addc_co_u32_e32 v11, vcc, 0, v11, vcc
	v_cmp_gt_i32_e32 vcc, 31, v10
	v_cndmask_b32_e32 v9, v0, v9, vcc
	v_cmp_gt_i32_e32 vcc, 31, v12
	v_lshl_or_b32 v7, v7, 9, v0
	v_cndmask_b32_e32 v11, v0, v11, vcc
	v_cmp_eq_u32_e32 vcc, s18, v10
	v_lshrrev_b32_e32 v8, 16, v8
	v_lshl_or_b32 v3, v3, 9, v0
	v_cndmask_b32_e32 v7, v9, v7, vcc
	v_cmp_eq_u32_e32 vcc, s18, v12
	v_lshrrev_b32_e32 v4, 16, v4
	v_cndmask_b32_e32 v3, v11, v3, vcc
	v_and_or_b32 v7, v8, s17, v7
	v_and_or_b32 v3, v4, s17, v3
	v_and_b32_e32 v4, 0xffff, v7
	v_lshl_or_b32 v3, v3, 16, v4
	global_store_dword v[5:6], v3, off
	global_load_dword v7, v31, s[6:7] offset:216
	ds_read2_b32 v[3:4], v31 offset0:54 offset1:108
	s_mul_i32 s0, s9, 0xd8
	s_mul_hi_u32 s9, s8, 0xd8
	s_mulk_i32 s8, 0xd8
	s_add_i32 s9, s9, s0
	s_waitcnt lgkmcnt(0)
	v_lshrrev_b32_e32 v8, 16, v3
	v_add_co_u32_e32 v5, vcc, s8, v5
	s_waitcnt vmcnt(0)
	v_mul_f16_sdwa v9, v8, v7 dst_sel:DWORD dst_unused:UNUSED_PAD src0_sel:DWORD src1_sel:WORD_1
	v_fma_f16 v9, v3, v7, v9
	v_mul_f16_sdwa v3, v3, v7 dst_sel:DWORD dst_unused:UNUSED_PAD src0_sel:DWORD src1_sel:WORD_1
	v_cvt_f32_f16_e32 v9, v9
	v_fma_f16 v3, v7, v8, -v3
	v_cvt_f32_f16_e32 v3, v3
	v_cvt_f64_f32_e32 v[7:8], v9
	v_cvt_f64_f32_e32 v[9:10], v3
	v_mov_b32_e32 v3, s9
	v_mul_f64 v[7:8], v[7:8], s[14:15]
	v_addc_co_u32_e32 v6, vcc, v6, v3, vcc
	v_mul_f64 v[9:10], v[9:10], s[14:15]
	v_and_or_b32 v3, v8, s16, v7
	v_cmp_ne_u32_e32 vcc, 0, v3
	v_lshrrev_b32_e32 v7, 8, v8
	v_and_or_b32 v9, v10, s16, v9
	v_bfe_u32 v11, v8, 20, 11
	v_cndmask_b32_e64 v3, 0, 1, vcc
	v_cmp_ne_u32_e32 vcc, 0, v9
	v_lshrrev_b32_e32 v12, 8, v10
	v_bfe_u32 v13, v10, 20, 11
	v_sub_u32_e32 v14, 0x3f1, v11
	v_cndmask_b32_e64 v9, 0, 1, vcc
	v_and_or_b32 v3, v7, s10, v3
	v_sub_u32_e32 v15, 0x3f1, v13
	v_med3_i32 v7, v14, 0, 13
	v_and_or_b32 v9, v12, s10, v9
	v_or_b32_e32 v14, 0x1000, v3
	v_add_u32_e32 v11, 0xfffffc10, v11
	v_med3_i32 v12, v15, 0, 13
	v_cmp_ne_u32_e32 vcc, 0, v3
	v_or_b32_e32 v16, 0x1000, v9
	v_lshrrev_b32_e32 v18, v7, v14
	v_add_u32_e32 v13, 0xfffffc10, v13
	v_lshl_or_b32 v15, v11, 12, v3
	v_cndmask_b32_e64 v3, 0, 1, vcc
	v_cmp_ne_u32_e32 vcc, 0, v9
	v_lshrrev_b32_e32 v19, v12, v16
	v_lshlrev_b32_e32 v7, v7, v18
	v_lshl_or_b32 v17, v13, 12, v9
	v_cndmask_b32_e64 v9, 0, 1, vcc
	v_lshlrev_b32_e32 v12, v12, v19
	v_cmp_ne_u32_e32 vcc, v7, v14
	v_cndmask_b32_e64 v7, 0, 1, vcc
	v_cmp_ne_u32_e32 vcc, v12, v16
	v_cndmask_b32_e64 v12, 0, 1, vcc
	v_or_b32_e32 v7, v18, v7
	v_cmp_gt_i32_e32 vcc, 1, v11
	v_cndmask_b32_e32 v7, v15, v7, vcc
	v_or_b32_e32 v12, v19, v12
	v_cmp_gt_i32_e32 vcc, 1, v13
	v_and_b32_e32 v14, 7, v7
	v_cndmask_b32_e32 v12, v17, v12, vcc
	v_cmp_lt_i32_e32 vcc, 5, v14
	v_cmp_eq_u32_e64 s[0:1], 3, v14
	v_lshrrev_b32_e32 v7, 2, v7
	v_and_b32_e32 v15, 7, v12
	s_or_b64 vcc, s[0:1], vcc
	v_cmp_lt_i32_e64 s[2:3], 5, v15
	v_cmp_eq_u32_e64 s[4:5], 3, v15
	v_addc_co_u32_e32 v7, vcc, 0, v7, vcc
	v_lshrrev_b32_e32 v12, 2, v12
	s_or_b64 vcc, s[4:5], s[2:3]
	v_addc_co_u32_e32 v12, vcc, 0, v12, vcc
	v_cmp_gt_i32_e32 vcc, 31, v11
	v_cndmask_b32_e32 v7, v0, v7, vcc
	v_cmp_gt_i32_e32 vcc, 31, v13
	v_lshl_or_b32 v3, v3, 9, v0
	v_cndmask_b32_e32 v12, v0, v12, vcc
	v_cmp_eq_u32_e32 vcc, s18, v11
	v_lshrrev_b32_e32 v8, 16, v8
	v_lshl_or_b32 v9, v9, 9, v0
	v_cndmask_b32_e32 v3, v7, v3, vcc
	v_cmp_eq_u32_e32 vcc, s18, v13
	v_lshrrev_b32_e32 v10, 16, v10
	v_cndmask_b32_e32 v7, v12, v9, vcc
	v_and_or_b32 v3, v8, s17, v3
	v_and_or_b32 v7, v10, s17, v7
	v_and_b32_e32 v3, 0xffff, v3
	v_lshl_or_b32 v3, v7, 16, v3
	global_store_dword v[5:6], v3, off
	global_load_dword v3, v31, s[6:7] offset:432
	v_lshrrev_b32_e32 v7, 16, v4
	v_mov_b32_e32 v9, s9
	v_add_co_u32_e32 v5, vcc, s8, v5
	v_addc_co_u32_e32 v6, vcc, v6, v9, vcc
	s_waitcnt vmcnt(0)
	v_mul_f16_sdwa v8, v7, v3 dst_sel:DWORD dst_unused:UNUSED_PAD src0_sel:DWORD src1_sel:WORD_1
	v_fma_f16 v8, v4, v3, v8
	v_mul_f16_sdwa v4, v4, v3 dst_sel:DWORD dst_unused:UNUSED_PAD src0_sel:DWORD src1_sel:WORD_1
	v_cvt_f32_f16_e32 v8, v8
	v_fma_f16 v3, v3, v7, -v4
	v_cvt_f32_f16_e32 v7, v3
	v_cvt_f64_f32_e32 v[3:4], v8
	v_cvt_f64_f32_e32 v[7:8], v7
	v_mul_f64 v[3:4], v[3:4], s[14:15]
	v_mul_f64 v[7:8], v[7:8], s[14:15]
	v_and_or_b32 v3, v4, s16, v3
	v_cmp_ne_u32_e32 vcc, 0, v3
	v_and_or_b32 v7, v8, s16, v7
	v_lshrrev_b32_e32 v9, 8, v4
	v_bfe_u32 v10, v4, 20, 11
	v_cndmask_b32_e64 v3, 0, 1, vcc
	v_cmp_ne_u32_e32 vcc, 0, v7
	v_lshrrev_b32_e32 v11, 8, v8
	v_bfe_u32 v12, v8, 20, 11
	v_sub_u32_e32 v13, 0x3f1, v10
	v_cndmask_b32_e64 v7, 0, 1, vcc
	v_and_or_b32 v3, v9, s10, v3
	v_sub_u32_e32 v14, 0x3f1, v12
	v_med3_i32 v9, v13, 0, 13
	v_and_or_b32 v7, v11, s10, v7
	v_or_b32_e32 v13, 0x1000, v3
	v_add_u32_e32 v10, 0xfffffc10, v10
	v_med3_i32 v11, v14, 0, 13
	v_cmp_ne_u32_e32 vcc, 0, v3
	v_or_b32_e32 v15, 0x1000, v7
	v_lshrrev_b32_e32 v17, v9, v13
	v_add_u32_e32 v12, 0xfffffc10, v12
	v_lshl_or_b32 v14, v10, 12, v3
	v_cndmask_b32_e64 v3, 0, 1, vcc
	v_cmp_ne_u32_e32 vcc, 0, v7
	v_lshrrev_b32_e32 v18, v11, v15
	v_lshlrev_b32_e32 v9, v9, v17
	v_lshl_or_b32 v16, v12, 12, v7
	v_cndmask_b32_e64 v7, 0, 1, vcc
	v_lshlrev_b32_e32 v11, v11, v18
	v_cmp_ne_u32_e32 vcc, v9, v13
	v_cndmask_b32_e64 v9, 0, 1, vcc
	v_cmp_ne_u32_e32 vcc, v11, v15
	v_cndmask_b32_e64 v11, 0, 1, vcc
	v_or_b32_e32 v9, v17, v9
	v_cmp_gt_i32_e32 vcc, 1, v10
	v_cndmask_b32_e32 v9, v14, v9, vcc
	v_or_b32_e32 v11, v18, v11
	v_cmp_gt_i32_e32 vcc, 1, v12
	v_and_b32_e32 v13, 7, v9
	v_cndmask_b32_e32 v11, v16, v11, vcc
	v_cmp_lt_i32_e32 vcc, 5, v13
	v_cmp_eq_u32_e64 s[0:1], 3, v13
	v_lshrrev_b32_e32 v9, 2, v9
	v_and_b32_e32 v14, 7, v11
	s_or_b64 vcc, s[0:1], vcc
	v_cmp_lt_i32_e64 s[2:3], 5, v14
	v_cmp_eq_u32_e64 s[4:5], 3, v14
	v_addc_co_u32_e32 v9, vcc, 0, v9, vcc
	v_lshrrev_b32_e32 v11, 2, v11
	s_or_b64 vcc, s[4:5], s[2:3]
	v_addc_co_u32_e32 v11, vcc, 0, v11, vcc
	v_cmp_gt_i32_e32 vcc, 31, v10
	v_cndmask_b32_e32 v9, v0, v9, vcc
	v_cmp_gt_i32_e32 vcc, 31, v12
	v_lshl_or_b32 v3, v3, 9, v0
	v_cndmask_b32_e32 v11, v0, v11, vcc
	v_cmp_eq_u32_e32 vcc, s18, v10
	v_lshrrev_b32_e32 v4, 16, v4
	v_lshl_or_b32 v7, v7, 9, v0
	v_cndmask_b32_e32 v3, v9, v3, vcc
	v_cmp_eq_u32_e32 vcc, s18, v12
	v_lshrrev_b32_e32 v8, 16, v8
	v_cndmask_b32_e32 v7, v11, v7, vcc
	v_and_or_b32 v3, v4, s17, v3
	v_and_or_b32 v4, v8, s17, v7
	v_and_b32_e32 v3, 0xffff, v3
	v_lshl_or_b32 v3, v4, 16, v3
	global_store_dword v[5:6], v3, off
	global_load_dword v7, v31, s[6:7] offset:648
	ds_read2_b32 v[3:4], v31 offset0:162 offset1:216
	v_add_co_u32_e32 v5, vcc, s8, v5
	s_waitcnt lgkmcnt(0)
	v_lshrrev_b32_e32 v8, 16, v3
	s_waitcnt vmcnt(0)
	v_mul_f16_sdwa v9, v8, v7 dst_sel:DWORD dst_unused:UNUSED_PAD src0_sel:DWORD src1_sel:WORD_1
	v_fma_f16 v9, v3, v7, v9
	v_mul_f16_sdwa v3, v3, v7 dst_sel:DWORD dst_unused:UNUSED_PAD src0_sel:DWORD src1_sel:WORD_1
	v_cvt_f32_f16_e32 v9, v9
	v_fma_f16 v3, v7, v8, -v3
	v_cvt_f32_f16_e32 v3, v3
	v_cvt_f64_f32_e32 v[7:8], v9
	v_cvt_f64_f32_e32 v[9:10], v3
	v_mov_b32_e32 v3, s9
	v_mul_f64 v[7:8], v[7:8], s[14:15]
	v_addc_co_u32_e32 v6, vcc, v6, v3, vcc
	v_mul_f64 v[9:10], v[9:10], s[14:15]
	v_and_or_b32 v3, v8, s16, v7
	v_cmp_ne_u32_e32 vcc, 0, v3
	v_lshrrev_b32_e32 v7, 8, v8
	v_and_or_b32 v9, v10, s16, v9
	v_bfe_u32 v11, v8, 20, 11
	v_cndmask_b32_e64 v3, 0, 1, vcc
	v_cmp_ne_u32_e32 vcc, 0, v9
	v_lshrrev_b32_e32 v12, 8, v10
	v_bfe_u32 v13, v10, 20, 11
	v_sub_u32_e32 v14, 0x3f1, v11
	v_cndmask_b32_e64 v9, 0, 1, vcc
	v_and_or_b32 v3, v7, s10, v3
	v_sub_u32_e32 v15, 0x3f1, v13
	v_med3_i32 v7, v14, 0, 13
	v_and_or_b32 v9, v12, s10, v9
	v_or_b32_e32 v14, 0x1000, v3
	v_add_u32_e32 v11, 0xfffffc10, v11
	v_med3_i32 v12, v15, 0, 13
	v_cmp_ne_u32_e32 vcc, 0, v3
	v_or_b32_e32 v16, 0x1000, v9
	v_lshrrev_b32_e32 v18, v7, v14
	v_add_u32_e32 v13, 0xfffffc10, v13
	v_lshl_or_b32 v15, v11, 12, v3
	v_cndmask_b32_e64 v3, 0, 1, vcc
	v_cmp_ne_u32_e32 vcc, 0, v9
	v_lshrrev_b32_e32 v19, v12, v16
	v_lshlrev_b32_e32 v7, v7, v18
	v_lshl_or_b32 v17, v13, 12, v9
	v_cndmask_b32_e64 v9, 0, 1, vcc
	v_lshlrev_b32_e32 v12, v12, v19
	v_cmp_ne_u32_e32 vcc, v7, v14
	v_cndmask_b32_e64 v7, 0, 1, vcc
	v_cmp_ne_u32_e32 vcc, v12, v16
	v_cndmask_b32_e64 v12, 0, 1, vcc
	v_or_b32_e32 v7, v18, v7
	v_cmp_gt_i32_e32 vcc, 1, v11
	v_cndmask_b32_e32 v7, v15, v7, vcc
	v_or_b32_e32 v12, v19, v12
	v_cmp_gt_i32_e32 vcc, 1, v13
	v_and_b32_e32 v14, 7, v7
	v_cndmask_b32_e32 v12, v17, v12, vcc
	v_cmp_lt_i32_e32 vcc, 5, v14
	v_cmp_eq_u32_e64 s[0:1], 3, v14
	v_lshrrev_b32_e32 v7, 2, v7
	v_and_b32_e32 v15, 7, v12
	s_or_b64 vcc, s[0:1], vcc
	v_cmp_lt_i32_e64 s[2:3], 5, v15
	v_cmp_eq_u32_e64 s[4:5], 3, v15
	v_addc_co_u32_e32 v7, vcc, 0, v7, vcc
	v_lshrrev_b32_e32 v12, 2, v12
	s_or_b64 vcc, s[4:5], s[2:3]
	v_addc_co_u32_e32 v12, vcc, 0, v12, vcc
	v_cmp_gt_i32_e32 vcc, 31, v11
	v_cndmask_b32_e32 v7, v0, v7, vcc
	v_cmp_gt_i32_e32 vcc, 31, v13
	v_lshl_or_b32 v3, v3, 9, v0
	v_cndmask_b32_e32 v12, v0, v12, vcc
	v_cmp_eq_u32_e32 vcc, s18, v11
	v_lshrrev_b32_e32 v8, 16, v8
	v_lshl_or_b32 v9, v9, 9, v0
	v_cndmask_b32_e32 v3, v7, v3, vcc
	v_cmp_eq_u32_e32 vcc, s18, v13
	v_lshrrev_b32_e32 v10, 16, v10
	v_cndmask_b32_e32 v7, v12, v9, vcc
	v_and_or_b32 v3, v8, s17, v3
	v_and_or_b32 v7, v10, s17, v7
	v_and_b32_e32 v3, 0xffff, v3
	v_lshl_or_b32 v3, v7, 16, v3
	global_store_dword v[5:6], v3, off
	global_load_dword v3, v31, s[6:7] offset:864
	v_lshrrev_b32_e32 v7, 16, v4
	v_mov_b32_e32 v9, s9
	v_add_co_u32_e32 v5, vcc, s8, v5
	v_addc_co_u32_e32 v6, vcc, v6, v9, vcc
	s_waitcnt vmcnt(0)
	v_mul_f16_sdwa v8, v7, v3 dst_sel:DWORD dst_unused:UNUSED_PAD src0_sel:DWORD src1_sel:WORD_1
	v_fma_f16 v8, v4, v3, v8
	v_mul_f16_sdwa v4, v4, v3 dst_sel:DWORD dst_unused:UNUSED_PAD src0_sel:DWORD src1_sel:WORD_1
	v_cvt_f32_f16_e32 v8, v8
	v_fma_f16 v3, v3, v7, -v4
	v_cvt_f32_f16_e32 v7, v3
	v_cvt_f64_f32_e32 v[3:4], v8
	v_cvt_f64_f32_e32 v[7:8], v7
	v_mul_f64 v[3:4], v[3:4], s[14:15]
	v_mul_f64 v[7:8], v[7:8], s[14:15]
	v_and_or_b32 v3, v4, s16, v3
	v_cmp_ne_u32_e32 vcc, 0, v3
	v_and_or_b32 v7, v8, s16, v7
	v_lshrrev_b32_e32 v9, 8, v4
	v_bfe_u32 v10, v4, 20, 11
	v_cndmask_b32_e64 v3, 0, 1, vcc
	v_cmp_ne_u32_e32 vcc, 0, v7
	v_lshrrev_b32_e32 v11, 8, v8
	v_bfe_u32 v12, v8, 20, 11
	v_sub_u32_e32 v13, 0x3f1, v10
	v_cndmask_b32_e64 v7, 0, 1, vcc
	v_and_or_b32 v3, v9, s10, v3
	v_sub_u32_e32 v14, 0x3f1, v12
	v_med3_i32 v9, v13, 0, 13
	v_and_or_b32 v7, v11, s10, v7
	v_or_b32_e32 v13, 0x1000, v3
	v_add_u32_e32 v10, 0xfffffc10, v10
	v_med3_i32 v11, v14, 0, 13
	v_cmp_ne_u32_e32 vcc, 0, v3
	v_or_b32_e32 v15, 0x1000, v7
	v_lshrrev_b32_e32 v17, v9, v13
	v_add_u32_e32 v12, 0xfffffc10, v12
	v_lshl_or_b32 v14, v10, 12, v3
	v_cndmask_b32_e64 v3, 0, 1, vcc
	v_cmp_ne_u32_e32 vcc, 0, v7
	v_lshrrev_b32_e32 v18, v11, v15
	v_lshlrev_b32_e32 v9, v9, v17
	v_lshl_or_b32 v16, v12, 12, v7
	v_cndmask_b32_e64 v7, 0, 1, vcc
	v_lshlrev_b32_e32 v11, v11, v18
	v_cmp_ne_u32_e32 vcc, v9, v13
	v_cndmask_b32_e64 v9, 0, 1, vcc
	v_cmp_ne_u32_e32 vcc, v11, v15
	v_cndmask_b32_e64 v11, 0, 1, vcc
	v_or_b32_e32 v9, v17, v9
	v_cmp_gt_i32_e32 vcc, 1, v10
	v_cndmask_b32_e32 v9, v14, v9, vcc
	v_or_b32_e32 v11, v18, v11
	v_cmp_gt_i32_e32 vcc, 1, v12
	v_and_b32_e32 v13, 7, v9
	v_cndmask_b32_e32 v11, v16, v11, vcc
	v_cmp_lt_i32_e32 vcc, 5, v13
	v_cmp_eq_u32_e64 s[0:1], 3, v13
	v_lshrrev_b32_e32 v9, 2, v9
	v_and_b32_e32 v14, 7, v11
	s_or_b64 vcc, s[0:1], vcc
	v_cmp_lt_i32_e64 s[2:3], 5, v14
	v_cmp_eq_u32_e64 s[4:5], 3, v14
	v_addc_co_u32_e32 v9, vcc, 0, v9, vcc
	v_lshrrev_b32_e32 v11, 2, v11
	s_or_b64 vcc, s[4:5], s[2:3]
	v_addc_co_u32_e32 v11, vcc, 0, v11, vcc
	v_cmp_gt_i32_e32 vcc, 31, v10
	v_cndmask_b32_e32 v9, v0, v9, vcc
	v_cmp_gt_i32_e32 vcc, 31, v12
	v_lshl_or_b32 v3, v3, 9, v0
	v_cndmask_b32_e32 v11, v0, v11, vcc
	v_cmp_eq_u32_e32 vcc, s18, v10
	v_lshrrev_b32_e32 v4, 16, v4
	v_lshl_or_b32 v7, v7, 9, v0
	v_cndmask_b32_e32 v3, v9, v3, vcc
	v_cmp_eq_u32_e32 vcc, s18, v12
	v_lshrrev_b32_e32 v8, 16, v8
	v_cndmask_b32_e32 v7, v11, v7, vcc
	v_and_or_b32 v3, v4, s17, v3
	v_and_or_b32 v4, v8, s17, v7
	v_and_b32_e32 v3, 0xffff, v3
	v_lshl_or_b32 v3, v4, 16, v3
	global_store_dword v[5:6], v3, off
	global_load_dword v7, v31, s[6:7] offset:1080
	ds_read2_b32 v[3:4], v2 offset0:14 offset1:68
	v_add_co_u32_e32 v5, vcc, s8, v5
	s_waitcnt lgkmcnt(0)
	v_lshrrev_b32_e32 v8, 16, v3
	s_waitcnt vmcnt(0)
	v_mul_f16_sdwa v9, v8, v7 dst_sel:DWORD dst_unused:UNUSED_PAD src0_sel:DWORD src1_sel:WORD_1
	v_fma_f16 v9, v3, v7, v9
	v_mul_f16_sdwa v3, v3, v7 dst_sel:DWORD dst_unused:UNUSED_PAD src0_sel:DWORD src1_sel:WORD_1
	v_cvt_f32_f16_e32 v9, v9
	v_fma_f16 v3, v7, v8, -v3
	v_cvt_f32_f16_e32 v3, v3
	v_cvt_f64_f32_e32 v[7:8], v9
	v_cvt_f64_f32_e32 v[9:10], v3
	v_mov_b32_e32 v3, s9
	v_mul_f64 v[7:8], v[7:8], s[14:15]
	v_addc_co_u32_e32 v6, vcc, v6, v3, vcc
	v_mul_f64 v[9:10], v[9:10], s[14:15]
	v_and_or_b32 v3, v8, s16, v7
	v_cmp_ne_u32_e32 vcc, 0, v3
	v_lshrrev_b32_e32 v7, 8, v8
	v_and_or_b32 v9, v10, s16, v9
	v_bfe_u32 v11, v8, 20, 11
	v_cndmask_b32_e64 v3, 0, 1, vcc
	v_cmp_ne_u32_e32 vcc, 0, v9
	v_lshrrev_b32_e32 v12, 8, v10
	v_bfe_u32 v13, v10, 20, 11
	v_sub_u32_e32 v14, 0x3f1, v11
	v_cndmask_b32_e64 v9, 0, 1, vcc
	v_and_or_b32 v3, v7, s10, v3
	v_sub_u32_e32 v15, 0x3f1, v13
	v_med3_i32 v7, v14, 0, 13
	v_and_or_b32 v9, v12, s10, v9
	v_or_b32_e32 v14, 0x1000, v3
	v_add_u32_e32 v11, 0xfffffc10, v11
	v_med3_i32 v12, v15, 0, 13
	v_cmp_ne_u32_e32 vcc, 0, v3
	v_or_b32_e32 v16, 0x1000, v9
	v_lshrrev_b32_e32 v18, v7, v14
	v_add_u32_e32 v13, 0xfffffc10, v13
	v_lshl_or_b32 v15, v11, 12, v3
	v_cndmask_b32_e64 v3, 0, 1, vcc
	v_cmp_ne_u32_e32 vcc, 0, v9
	v_lshrrev_b32_e32 v19, v12, v16
	v_lshlrev_b32_e32 v7, v7, v18
	v_lshl_or_b32 v17, v13, 12, v9
	v_cndmask_b32_e64 v9, 0, 1, vcc
	v_lshlrev_b32_e32 v12, v12, v19
	v_cmp_ne_u32_e32 vcc, v7, v14
	v_cndmask_b32_e64 v7, 0, 1, vcc
	v_cmp_ne_u32_e32 vcc, v12, v16
	v_cndmask_b32_e64 v12, 0, 1, vcc
	v_or_b32_e32 v7, v18, v7
	v_cmp_gt_i32_e32 vcc, 1, v11
	v_cndmask_b32_e32 v7, v15, v7, vcc
	v_or_b32_e32 v12, v19, v12
	v_cmp_gt_i32_e32 vcc, 1, v13
	v_and_b32_e32 v14, 7, v7
	v_cndmask_b32_e32 v12, v17, v12, vcc
	v_cmp_lt_i32_e32 vcc, 5, v14
	v_cmp_eq_u32_e64 s[0:1], 3, v14
	v_lshrrev_b32_e32 v7, 2, v7
	v_and_b32_e32 v15, 7, v12
	s_or_b64 vcc, s[0:1], vcc
	v_cmp_lt_i32_e64 s[2:3], 5, v15
	v_cmp_eq_u32_e64 s[4:5], 3, v15
	v_addc_co_u32_e32 v7, vcc, 0, v7, vcc
	v_lshrrev_b32_e32 v12, 2, v12
	s_or_b64 vcc, s[4:5], s[2:3]
	v_addc_co_u32_e32 v12, vcc, 0, v12, vcc
	v_cmp_gt_i32_e32 vcc, 31, v11
	v_cndmask_b32_e32 v7, v0, v7, vcc
	v_cmp_gt_i32_e32 vcc, 31, v13
	v_lshl_or_b32 v3, v3, 9, v0
	v_cndmask_b32_e32 v12, v0, v12, vcc
	v_cmp_eq_u32_e32 vcc, s18, v11
	v_lshrrev_b32_e32 v8, 16, v8
	v_lshl_or_b32 v9, v9, 9, v0
	v_cndmask_b32_e32 v3, v7, v3, vcc
	v_cmp_eq_u32_e32 vcc, s18, v13
	v_lshrrev_b32_e32 v10, 16, v10
	v_cndmask_b32_e32 v7, v12, v9, vcc
	v_and_or_b32 v3, v8, s17, v3
	v_and_or_b32 v7, v10, s17, v7
	v_and_b32_e32 v3, 0xffff, v3
	v_lshl_or_b32 v3, v7, 16, v3
	global_store_dword v[5:6], v3, off
	global_load_dword v3, v31, s[6:7] offset:1296
	v_lshrrev_b32_e32 v7, 16, v4
	v_mov_b32_e32 v9, s9
	v_add_co_u32_e32 v5, vcc, s8, v5
	v_addc_co_u32_e32 v6, vcc, v6, v9, vcc
	s_waitcnt vmcnt(0)
	v_mul_f16_sdwa v8, v7, v3 dst_sel:DWORD dst_unused:UNUSED_PAD src0_sel:DWORD src1_sel:WORD_1
	v_fma_f16 v8, v4, v3, v8
	v_mul_f16_sdwa v4, v4, v3 dst_sel:DWORD dst_unused:UNUSED_PAD src0_sel:DWORD src1_sel:WORD_1
	v_cvt_f32_f16_e32 v8, v8
	v_fma_f16 v3, v3, v7, -v4
	v_cvt_f32_f16_e32 v7, v3
	v_cvt_f64_f32_e32 v[3:4], v8
	v_cvt_f64_f32_e32 v[7:8], v7
	v_mul_f64 v[3:4], v[3:4], s[14:15]
	v_mul_f64 v[7:8], v[7:8], s[14:15]
	v_and_or_b32 v3, v4, s16, v3
	v_cmp_ne_u32_e32 vcc, 0, v3
	v_and_or_b32 v7, v8, s16, v7
	v_lshrrev_b32_e32 v9, 8, v4
	v_bfe_u32 v10, v4, 20, 11
	v_cndmask_b32_e64 v3, 0, 1, vcc
	v_cmp_ne_u32_e32 vcc, 0, v7
	v_lshrrev_b32_e32 v11, 8, v8
	v_bfe_u32 v12, v8, 20, 11
	v_sub_u32_e32 v13, 0x3f1, v10
	v_cndmask_b32_e64 v7, 0, 1, vcc
	v_and_or_b32 v3, v9, s10, v3
	v_sub_u32_e32 v14, 0x3f1, v12
	v_med3_i32 v9, v13, 0, 13
	v_and_or_b32 v7, v11, s10, v7
	v_or_b32_e32 v13, 0x1000, v3
	v_add_u32_e32 v10, 0xfffffc10, v10
	v_med3_i32 v11, v14, 0, 13
	v_cmp_ne_u32_e32 vcc, 0, v3
	v_or_b32_e32 v15, 0x1000, v7
	v_lshrrev_b32_e32 v17, v9, v13
	v_add_u32_e32 v12, 0xfffffc10, v12
	v_lshl_or_b32 v14, v10, 12, v3
	v_cndmask_b32_e64 v3, 0, 1, vcc
	v_cmp_ne_u32_e32 vcc, 0, v7
	v_lshrrev_b32_e32 v18, v11, v15
	v_lshlrev_b32_e32 v9, v9, v17
	v_lshl_or_b32 v16, v12, 12, v7
	v_cndmask_b32_e64 v7, 0, 1, vcc
	v_lshlrev_b32_e32 v11, v11, v18
	v_cmp_ne_u32_e32 vcc, v9, v13
	v_cndmask_b32_e64 v9, 0, 1, vcc
	v_cmp_ne_u32_e32 vcc, v11, v15
	v_cndmask_b32_e64 v11, 0, 1, vcc
	v_or_b32_e32 v9, v17, v9
	v_cmp_gt_i32_e32 vcc, 1, v10
	v_cndmask_b32_e32 v9, v14, v9, vcc
	v_or_b32_e32 v11, v18, v11
	v_cmp_gt_i32_e32 vcc, 1, v12
	v_and_b32_e32 v13, 7, v9
	v_cndmask_b32_e32 v11, v16, v11, vcc
	v_cmp_lt_i32_e32 vcc, 5, v13
	v_cmp_eq_u32_e64 s[0:1], 3, v13
	v_lshrrev_b32_e32 v9, 2, v9
	v_and_b32_e32 v14, 7, v11
	s_or_b64 vcc, s[0:1], vcc
	v_cmp_lt_i32_e64 s[2:3], 5, v14
	v_cmp_eq_u32_e64 s[4:5], 3, v14
	v_addc_co_u32_e32 v9, vcc, 0, v9, vcc
	v_lshrrev_b32_e32 v11, 2, v11
	s_or_b64 vcc, s[4:5], s[2:3]
	v_addc_co_u32_e32 v11, vcc, 0, v11, vcc
	v_cmp_gt_i32_e32 vcc, 31, v10
	v_cndmask_b32_e32 v9, v0, v9, vcc
	v_cmp_gt_i32_e32 vcc, 31, v12
	v_lshl_or_b32 v3, v3, 9, v0
	v_cndmask_b32_e32 v11, v0, v11, vcc
	v_cmp_eq_u32_e32 vcc, s18, v10
	v_lshrrev_b32_e32 v4, 16, v4
	v_lshl_or_b32 v7, v7, 9, v0
	v_cndmask_b32_e32 v3, v9, v3, vcc
	v_cmp_eq_u32_e32 vcc, s18, v12
	v_lshrrev_b32_e32 v8, 16, v8
	v_cndmask_b32_e32 v7, v11, v7, vcc
	v_and_or_b32 v3, v4, s17, v3
	v_and_or_b32 v4, v8, s17, v7
	v_and_b32_e32 v3, 0xffff, v3
	v_lshl_or_b32 v3, v4, 16, v3
	global_store_dword v[5:6], v3, off
	global_load_dword v4, v31, s[6:7] offset:1512
	ds_read2_b32 v[2:3], v2 offset0:122 offset1:176
	s_waitcnt lgkmcnt(0)
	v_lshrrev_b32_e32 v7, 16, v2
	s_waitcnt vmcnt(0)
	v_mul_f16_sdwa v8, v7, v4 dst_sel:DWORD dst_unused:UNUSED_PAD src0_sel:DWORD src1_sel:WORD_1
	v_fma_f16 v8, v2, v4, v8
	v_mul_f16_sdwa v2, v2, v4 dst_sel:DWORD dst_unused:UNUSED_PAD src0_sel:DWORD src1_sel:WORD_1
	v_cvt_f32_f16_e32 v8, v8
	v_fma_f16 v2, v4, v7, -v2
	v_cvt_f32_f16_e32 v2, v2
	v_add_co_u32_e32 v4, vcc, s8, v5
	v_cvt_f64_f32_e32 v[7:8], v8
	v_cvt_f64_f32_e32 v[9:10], v2
	v_mov_b32_e32 v2, s9
	v_addc_co_u32_e32 v5, vcc, v6, v2, vcc
	v_mul_f64 v[7:8], v[7:8], s[14:15]
	v_mul_f64 v[9:10], v[9:10], s[14:15]
	v_and_or_b32 v2, v8, s16, v7
	v_and_or_b32 v9, v10, s16, v9
	v_cmp_ne_u32_e32 vcc, 0, v2
	v_lshrrev_b32_e32 v6, 8, v8
	v_bfe_u32 v7, v8, 20, 11
	v_cndmask_b32_e64 v2, 0, 1, vcc
	v_cmp_ne_u32_e32 vcc, 0, v9
	v_lshrrev_b32_e32 v11, 8, v10
	v_bfe_u32 v12, v10, 20, 11
	v_sub_u32_e32 v13, 0x3f1, v7
	v_cndmask_b32_e64 v9, 0, 1, vcc
	v_and_or_b32 v2, v6, s10, v2
	v_sub_u32_e32 v14, 0x3f1, v12
	v_med3_i32 v6, v13, 0, 13
	v_and_or_b32 v9, v11, s10, v9
	v_or_b32_e32 v13, 0x1000, v2
	v_add_u32_e32 v7, 0xfffffc10, v7
	v_med3_i32 v11, v14, 0, 13
	v_cmp_ne_u32_e32 vcc, 0, v2
	v_or_b32_e32 v15, 0x1000, v9
	v_lshrrev_b32_e32 v17, v6, v13
	v_add_u32_e32 v12, 0xfffffc10, v12
	v_lshl_or_b32 v14, v7, 12, v2
	v_cndmask_b32_e64 v2, 0, 1, vcc
	v_cmp_ne_u32_e32 vcc, 0, v9
	v_lshrrev_b32_e32 v18, v11, v15
	v_lshlrev_b32_e32 v6, v6, v17
	v_lshl_or_b32 v16, v12, 12, v9
	v_cndmask_b32_e64 v9, 0, 1, vcc
	v_lshlrev_b32_e32 v11, v11, v18
	v_cmp_ne_u32_e32 vcc, v6, v13
	v_cndmask_b32_e64 v6, 0, 1, vcc
	v_cmp_ne_u32_e32 vcc, v11, v15
	v_cndmask_b32_e64 v11, 0, 1, vcc
	v_or_b32_e32 v6, v17, v6
	v_cmp_gt_i32_e32 vcc, 1, v7
	v_cndmask_b32_e32 v6, v14, v6, vcc
	v_or_b32_e32 v11, v18, v11
	v_cmp_gt_i32_e32 vcc, 1, v12
	v_and_b32_e32 v13, 7, v6
	v_cndmask_b32_e32 v11, v16, v11, vcc
	v_cmp_lt_i32_e32 vcc, 5, v13
	v_cmp_eq_u32_e64 s[0:1], 3, v13
	v_lshrrev_b32_e32 v6, 2, v6
	v_and_b32_e32 v14, 7, v11
	s_or_b64 vcc, s[0:1], vcc
	v_cmp_lt_i32_e64 s[2:3], 5, v14
	v_cmp_eq_u32_e64 s[4:5], 3, v14
	v_addc_co_u32_e32 v6, vcc, 0, v6, vcc
	v_lshrrev_b32_e32 v11, 2, v11
	s_or_b64 vcc, s[4:5], s[2:3]
	v_addc_co_u32_e32 v11, vcc, 0, v11, vcc
	v_cmp_gt_i32_e32 vcc, 31, v7
	v_cndmask_b32_e32 v6, v0, v6, vcc
	v_cmp_gt_i32_e32 vcc, 31, v12
	v_lshl_or_b32 v2, v2, 9, v0
	v_cndmask_b32_e32 v11, v0, v11, vcc
	v_cmp_eq_u32_e32 vcc, s18, v7
	v_lshrrev_b32_e32 v8, 16, v8
	v_lshl_or_b32 v9, v9, 9, v0
	v_cndmask_b32_e32 v2, v6, v2, vcc
	v_cmp_eq_u32_e32 vcc, s18, v12
	v_lshrrev_b32_e32 v10, 16, v10
	v_cndmask_b32_e32 v6, v11, v9, vcc
	v_and_or_b32 v2, v8, s17, v2
	v_and_or_b32 v6, v10, s17, v6
	v_and_b32_e32 v2, 0xffff, v2
	v_lshl_or_b32 v2, v6, 16, v2
	global_store_dword v[4:5], v2, off
	global_load_dword v2, v31, s[6:7] offset:1728
	v_lshrrev_b32_e32 v6, 16, v3
	v_mov_b32_e32 v8, s9
	v_add_co_u32_e32 v4, vcc, s8, v4
	v_addc_co_u32_e32 v5, vcc, v5, v8, vcc
	s_waitcnt vmcnt(0)
	v_mul_f16_sdwa v7, v6, v2 dst_sel:DWORD dst_unused:UNUSED_PAD src0_sel:DWORD src1_sel:WORD_1
	v_fma_f16 v7, v3, v2, v7
	v_mul_f16_sdwa v3, v3, v2 dst_sel:DWORD dst_unused:UNUSED_PAD src0_sel:DWORD src1_sel:WORD_1
	v_cvt_f32_f16_e32 v7, v7
	v_fma_f16 v2, v2, v6, -v3
	v_cvt_f32_f16_e32 v6, v2
	v_cvt_f64_f32_e32 v[2:3], v7
	v_cvt_f64_f32_e32 v[6:7], v6
	v_mul_f64 v[2:3], v[2:3], s[14:15]
	v_mul_f64 v[6:7], v[6:7], s[14:15]
	v_and_or_b32 v2, v3, s16, v2
	v_cmp_ne_u32_e32 vcc, 0, v2
	v_and_or_b32 v6, v7, s16, v6
	v_lshrrev_b32_e32 v8, 8, v3
	v_bfe_u32 v9, v3, 20, 11
	v_cndmask_b32_e64 v2, 0, 1, vcc
	v_cmp_ne_u32_e32 vcc, 0, v6
	v_lshrrev_b32_e32 v10, 8, v7
	v_bfe_u32 v11, v7, 20, 11
	v_sub_u32_e32 v12, 0x3f1, v9
	v_cndmask_b32_e64 v6, 0, 1, vcc
	v_and_or_b32 v2, v8, s10, v2
	v_sub_u32_e32 v13, 0x3f1, v11
	v_med3_i32 v8, v12, 0, 13
	v_and_or_b32 v6, v10, s10, v6
	v_or_b32_e32 v12, 0x1000, v2
	v_add_u32_e32 v9, 0xfffffc10, v9
	v_med3_i32 v10, v13, 0, 13
	v_cmp_ne_u32_e32 vcc, 0, v2
	v_or_b32_e32 v14, 0x1000, v6
	v_lshrrev_b32_e32 v16, v8, v12
	v_add_u32_e32 v11, 0xfffffc10, v11
	v_lshl_or_b32 v13, v9, 12, v2
	v_cndmask_b32_e64 v2, 0, 1, vcc
	v_cmp_ne_u32_e32 vcc, 0, v6
	v_lshrrev_b32_e32 v17, v10, v14
	v_lshlrev_b32_e32 v8, v8, v16
	v_lshl_or_b32 v15, v11, 12, v6
	v_cndmask_b32_e64 v6, 0, 1, vcc
	v_lshlrev_b32_e32 v10, v10, v17
	v_cmp_ne_u32_e32 vcc, v8, v12
	v_cndmask_b32_e64 v8, 0, 1, vcc
	v_cmp_ne_u32_e32 vcc, v10, v14
	v_cndmask_b32_e64 v10, 0, 1, vcc
	v_or_b32_e32 v8, v16, v8
	v_cmp_gt_i32_e32 vcc, 1, v9
	v_cndmask_b32_e32 v8, v13, v8, vcc
	v_or_b32_e32 v10, v17, v10
	v_cmp_gt_i32_e32 vcc, 1, v11
	v_and_b32_e32 v12, 7, v8
	v_cndmask_b32_e32 v10, v15, v10, vcc
	v_cmp_lt_i32_e32 vcc, 5, v12
	v_cmp_eq_u32_e64 s[0:1], 3, v12
	v_lshrrev_b32_e32 v8, 2, v8
	v_and_b32_e32 v13, 7, v10
	s_or_b64 vcc, s[0:1], vcc
	v_cmp_lt_i32_e64 s[2:3], 5, v13
	v_cmp_eq_u32_e64 s[4:5], 3, v13
	v_addc_co_u32_e32 v8, vcc, 0, v8, vcc
	v_lshrrev_b32_e32 v10, 2, v10
	s_or_b64 vcc, s[4:5], s[2:3]
	v_addc_co_u32_e32 v10, vcc, 0, v10, vcc
	v_cmp_gt_i32_e32 vcc, 31, v9
	v_cndmask_b32_e32 v8, v0, v8, vcc
	v_cmp_gt_i32_e32 vcc, 31, v11
	v_lshl_or_b32 v2, v2, 9, v0
	v_cndmask_b32_e32 v10, v0, v10, vcc
	v_cmp_eq_u32_e32 vcc, s18, v9
	v_lshrrev_b32_e32 v3, 16, v3
	v_lshl_or_b32 v6, v6, 9, v0
	v_cndmask_b32_e32 v2, v8, v2, vcc
	v_cmp_eq_u32_e32 vcc, s18, v11
	v_lshrrev_b32_e32 v7, 16, v7
	v_cndmask_b32_e32 v6, v10, v6, vcc
	v_and_or_b32 v2, v3, s17, v2
	v_and_or_b32 v3, v7, s17, v6
	v_and_b32_e32 v2, 0xffff, v2
	v_lshl_or_b32 v2, v3, 16, v2
	global_store_dword v[4:5], v2, off
	global_load_dword v6, v31, s[6:7] offset:1944
	v_add_u32_e32 v2, 0x600, v31
	ds_read2_b32 v[2:3], v2 offset0:102 offset1:156
	v_add_co_u32_e32 v4, vcc, s8, v4
	s_waitcnt lgkmcnt(0)
	v_lshrrev_b32_e32 v7, 16, v2
	s_waitcnt vmcnt(0)
	v_mul_f16_sdwa v8, v7, v6 dst_sel:DWORD dst_unused:UNUSED_PAD src0_sel:DWORD src1_sel:WORD_1
	v_fma_f16 v8, v2, v6, v8
	v_mul_f16_sdwa v2, v2, v6 dst_sel:DWORD dst_unused:UNUSED_PAD src0_sel:DWORD src1_sel:WORD_1
	v_cvt_f32_f16_e32 v8, v8
	v_fma_f16 v2, v6, v7, -v2
	v_cvt_f32_f16_e32 v2, v2
	v_cvt_f64_f32_e32 v[6:7], v8
	v_cvt_f64_f32_e32 v[8:9], v2
	v_mov_b32_e32 v2, s9
	v_mul_f64 v[6:7], v[6:7], s[14:15]
	v_addc_co_u32_e32 v5, vcc, v5, v2, vcc
	v_mul_f64 v[8:9], v[8:9], s[14:15]
	v_and_or_b32 v2, v7, s16, v6
	v_cmp_ne_u32_e32 vcc, 0, v2
	v_lshrrev_b32_e32 v6, 8, v7
	v_and_or_b32 v8, v9, s16, v8
	v_bfe_u32 v10, v7, 20, 11
	v_cndmask_b32_e64 v2, 0, 1, vcc
	v_cmp_ne_u32_e32 vcc, 0, v8
	v_lshrrev_b32_e32 v11, 8, v9
	v_bfe_u32 v12, v9, 20, 11
	v_sub_u32_e32 v13, 0x3f1, v10
	v_cndmask_b32_e64 v8, 0, 1, vcc
	v_and_or_b32 v2, v6, s10, v2
	v_sub_u32_e32 v14, 0x3f1, v12
	v_med3_i32 v6, v13, 0, 13
	v_and_or_b32 v8, v11, s10, v8
	v_or_b32_e32 v13, 0x1000, v2
	v_add_u32_e32 v10, 0xfffffc10, v10
	v_med3_i32 v11, v14, 0, 13
	v_cmp_ne_u32_e32 vcc, 0, v2
	v_or_b32_e32 v15, 0x1000, v8
	v_lshrrev_b32_e32 v17, v6, v13
	v_add_u32_e32 v12, 0xfffffc10, v12
	v_lshl_or_b32 v14, v10, 12, v2
	v_cndmask_b32_e64 v2, 0, 1, vcc
	v_cmp_ne_u32_e32 vcc, 0, v8
	v_lshrrev_b32_e32 v18, v11, v15
	v_lshlrev_b32_e32 v6, v6, v17
	v_lshl_or_b32 v16, v12, 12, v8
	v_cndmask_b32_e64 v8, 0, 1, vcc
	v_lshlrev_b32_e32 v11, v11, v18
	v_cmp_ne_u32_e32 vcc, v6, v13
	v_cndmask_b32_e64 v6, 0, 1, vcc
	v_cmp_ne_u32_e32 vcc, v11, v15
	v_cndmask_b32_e64 v11, 0, 1, vcc
	v_or_b32_e32 v6, v17, v6
	v_cmp_gt_i32_e32 vcc, 1, v10
	v_cndmask_b32_e32 v6, v14, v6, vcc
	v_or_b32_e32 v11, v18, v11
	v_cmp_gt_i32_e32 vcc, 1, v12
	v_and_b32_e32 v13, 7, v6
	v_cndmask_b32_e32 v11, v16, v11, vcc
	v_cmp_lt_i32_e32 vcc, 5, v13
	v_cmp_eq_u32_e64 s[0:1], 3, v13
	v_lshrrev_b32_e32 v6, 2, v6
	v_and_b32_e32 v14, 7, v11
	s_or_b64 vcc, s[0:1], vcc
	v_cmp_lt_i32_e64 s[2:3], 5, v14
	v_cmp_eq_u32_e64 s[4:5], 3, v14
	v_addc_co_u32_e32 v6, vcc, 0, v6, vcc
	v_lshrrev_b32_e32 v11, 2, v11
	s_or_b64 vcc, s[4:5], s[2:3]
	v_addc_co_u32_e32 v11, vcc, 0, v11, vcc
	v_cmp_gt_i32_e32 vcc, 31, v10
	v_cndmask_b32_e32 v6, v0, v6, vcc
	v_cmp_gt_i32_e32 vcc, 31, v12
	v_lshl_or_b32 v2, v2, 9, v0
	v_cndmask_b32_e32 v11, v0, v11, vcc
	v_cmp_eq_u32_e32 vcc, s18, v10
	v_lshrrev_b32_e32 v7, 16, v7
	v_lshl_or_b32 v8, v8, 9, v0
	v_cndmask_b32_e32 v2, v6, v2, vcc
	v_cmp_eq_u32_e32 vcc, s18, v12
	v_lshrrev_b32_e32 v9, 16, v9
	v_cndmask_b32_e32 v6, v11, v8, vcc
	v_and_or_b32 v2, v7, s17, v2
	v_and_or_b32 v6, v9, s17, v6
	v_and_b32_e32 v2, 0xffff, v2
	v_lshl_or_b32 v2, v6, 16, v2
	global_store_dword v[4:5], v2, off
	global_load_dword v2, v31, s[6:7] offset:2160
	v_lshrrev_b32_e32 v6, 16, v3
	v_mov_b32_e32 v8, s9
	v_add_co_u32_e32 v4, vcc, s8, v4
	v_addc_co_u32_e32 v5, vcc, v5, v8, vcc
	s_waitcnt vmcnt(0)
	v_mul_f16_sdwa v7, v6, v2 dst_sel:DWORD dst_unused:UNUSED_PAD src0_sel:DWORD src1_sel:WORD_1
	v_fma_f16 v7, v3, v2, v7
	v_mul_f16_sdwa v3, v3, v2 dst_sel:DWORD dst_unused:UNUSED_PAD src0_sel:DWORD src1_sel:WORD_1
	v_cvt_f32_f16_e32 v7, v7
	v_fma_f16 v2, v2, v6, -v3
	v_cvt_f32_f16_e32 v6, v2
	v_cvt_f64_f32_e32 v[2:3], v7
	v_cvt_f64_f32_e32 v[6:7], v6
	v_mul_f64 v[2:3], v[2:3], s[14:15]
	v_mul_f64 v[6:7], v[6:7], s[14:15]
	v_and_or_b32 v2, v3, s16, v2
	v_cmp_ne_u32_e32 vcc, 0, v2
	v_and_or_b32 v6, v7, s16, v6
	v_lshrrev_b32_e32 v8, 8, v3
	v_bfe_u32 v9, v3, 20, 11
	v_cndmask_b32_e64 v2, 0, 1, vcc
	v_cmp_ne_u32_e32 vcc, 0, v6
	v_lshrrev_b32_e32 v10, 8, v7
	v_bfe_u32 v11, v7, 20, 11
	v_sub_u32_e32 v12, 0x3f1, v9
	v_cndmask_b32_e64 v6, 0, 1, vcc
	v_and_or_b32 v2, v8, s10, v2
	v_sub_u32_e32 v13, 0x3f1, v11
	v_med3_i32 v8, v12, 0, 13
	v_and_or_b32 v6, v10, s10, v6
	v_or_b32_e32 v12, 0x1000, v2
	v_add_u32_e32 v9, 0xfffffc10, v9
	v_med3_i32 v10, v13, 0, 13
	v_cmp_ne_u32_e32 vcc, 0, v2
	v_or_b32_e32 v14, 0x1000, v6
	v_lshrrev_b32_e32 v16, v8, v12
	v_add_u32_e32 v11, 0xfffffc10, v11
	v_lshl_or_b32 v13, v9, 12, v2
	v_cndmask_b32_e64 v2, 0, 1, vcc
	v_cmp_ne_u32_e32 vcc, 0, v6
	v_lshrrev_b32_e32 v17, v10, v14
	v_lshlrev_b32_e32 v8, v8, v16
	v_lshl_or_b32 v15, v11, 12, v6
	v_cndmask_b32_e64 v6, 0, 1, vcc
	v_lshlrev_b32_e32 v10, v10, v17
	v_cmp_ne_u32_e32 vcc, v8, v12
	v_cndmask_b32_e64 v8, 0, 1, vcc
	v_cmp_ne_u32_e32 vcc, v10, v14
	v_cndmask_b32_e64 v10, 0, 1, vcc
	v_or_b32_e32 v8, v16, v8
	v_cmp_gt_i32_e32 vcc, 1, v9
	v_cndmask_b32_e32 v8, v13, v8, vcc
	v_or_b32_e32 v10, v17, v10
	v_cmp_gt_i32_e32 vcc, 1, v11
	v_and_b32_e32 v12, 7, v8
	v_cndmask_b32_e32 v10, v15, v10, vcc
	v_cmp_lt_i32_e32 vcc, 5, v12
	v_cmp_eq_u32_e64 s[0:1], 3, v12
	v_lshrrev_b32_e32 v8, 2, v8
	v_and_b32_e32 v13, 7, v10
	s_or_b64 vcc, s[0:1], vcc
	v_cmp_lt_i32_e64 s[2:3], 5, v13
	v_cmp_eq_u32_e64 s[4:5], 3, v13
	v_addc_co_u32_e32 v8, vcc, 0, v8, vcc
	v_lshrrev_b32_e32 v10, 2, v10
	s_or_b64 vcc, s[4:5], s[2:3]
	v_addc_co_u32_e32 v10, vcc, 0, v10, vcc
	v_cmp_gt_i32_e32 vcc, 31, v9
	v_cndmask_b32_e32 v8, v0, v8, vcc
	v_cmp_gt_i32_e32 vcc, 31, v11
	v_lshl_or_b32 v2, v2, 9, v0
	v_cndmask_b32_e32 v10, v0, v10, vcc
	v_cmp_eq_u32_e32 vcc, s18, v9
	v_lshrrev_b32_e32 v3, 16, v3
	v_lshl_or_b32 v6, v6, 9, v0
	v_cndmask_b32_e32 v2, v8, v2, vcc
	v_cmp_eq_u32_e32 vcc, s18, v11
	v_lshrrev_b32_e32 v7, 16, v7
	v_cndmask_b32_e32 v6, v10, v6, vcc
	v_and_or_b32 v2, v3, s17, v2
	v_and_or_b32 v3, v7, s17, v6
	v_and_b32_e32 v2, 0xffff, v2
	v_lshl_or_b32 v2, v3, 16, v2
	global_store_dword v[4:5], v2, off
	global_load_dword v6, v31, s[6:7] offset:2376
	ds_read2_b32 v[2:3], v1 offset0:82 offset1:136
	v_add_co_u32_e32 v4, vcc, s8, v4
	s_waitcnt lgkmcnt(0)
	v_lshrrev_b32_e32 v7, 16, v2
	s_waitcnt vmcnt(0)
	v_mul_f16_sdwa v8, v7, v6 dst_sel:DWORD dst_unused:UNUSED_PAD src0_sel:DWORD src1_sel:WORD_1
	v_fma_f16 v8, v2, v6, v8
	v_mul_f16_sdwa v2, v2, v6 dst_sel:DWORD dst_unused:UNUSED_PAD src0_sel:DWORD src1_sel:WORD_1
	v_cvt_f32_f16_e32 v8, v8
	v_fma_f16 v2, v6, v7, -v2
	v_cvt_f32_f16_e32 v2, v2
	v_cvt_f64_f32_e32 v[6:7], v8
	v_cvt_f64_f32_e32 v[8:9], v2
	v_mov_b32_e32 v2, s9
	v_mul_f64 v[6:7], v[6:7], s[14:15]
	v_addc_co_u32_e32 v5, vcc, v5, v2, vcc
	v_mul_f64 v[8:9], v[8:9], s[14:15]
	v_and_or_b32 v2, v7, s16, v6
	v_cmp_ne_u32_e32 vcc, 0, v2
	v_lshrrev_b32_e32 v6, 8, v7
	v_and_or_b32 v8, v9, s16, v8
	v_bfe_u32 v10, v7, 20, 11
	v_cndmask_b32_e64 v2, 0, 1, vcc
	v_cmp_ne_u32_e32 vcc, 0, v8
	v_lshrrev_b32_e32 v11, 8, v9
	v_bfe_u32 v12, v9, 20, 11
	v_sub_u32_e32 v13, 0x3f1, v10
	v_cndmask_b32_e64 v8, 0, 1, vcc
	v_and_or_b32 v2, v6, s10, v2
	v_sub_u32_e32 v14, 0x3f1, v12
	v_med3_i32 v6, v13, 0, 13
	v_and_or_b32 v8, v11, s10, v8
	v_or_b32_e32 v13, 0x1000, v2
	v_add_u32_e32 v10, 0xfffffc10, v10
	v_med3_i32 v11, v14, 0, 13
	v_cmp_ne_u32_e32 vcc, 0, v2
	v_or_b32_e32 v15, 0x1000, v8
	v_lshrrev_b32_e32 v17, v6, v13
	v_add_u32_e32 v12, 0xfffffc10, v12
	v_lshl_or_b32 v14, v10, 12, v2
	v_cndmask_b32_e64 v2, 0, 1, vcc
	v_cmp_ne_u32_e32 vcc, 0, v8
	v_lshrrev_b32_e32 v18, v11, v15
	v_lshlrev_b32_e32 v6, v6, v17
	v_lshl_or_b32 v16, v12, 12, v8
	v_cndmask_b32_e64 v8, 0, 1, vcc
	v_lshlrev_b32_e32 v11, v11, v18
	v_cmp_ne_u32_e32 vcc, v6, v13
	v_cndmask_b32_e64 v6, 0, 1, vcc
	v_cmp_ne_u32_e32 vcc, v11, v15
	v_cndmask_b32_e64 v11, 0, 1, vcc
	v_or_b32_e32 v6, v17, v6
	v_cmp_gt_i32_e32 vcc, 1, v10
	v_cndmask_b32_e32 v6, v14, v6, vcc
	v_or_b32_e32 v11, v18, v11
	v_cmp_gt_i32_e32 vcc, 1, v12
	v_and_b32_e32 v13, 7, v6
	v_cndmask_b32_e32 v11, v16, v11, vcc
	v_cmp_lt_i32_e32 vcc, 5, v13
	v_cmp_eq_u32_e64 s[0:1], 3, v13
	v_lshrrev_b32_e32 v6, 2, v6
	v_and_b32_e32 v14, 7, v11
	s_or_b64 vcc, s[0:1], vcc
	v_cmp_lt_i32_e64 s[2:3], 5, v14
	v_cmp_eq_u32_e64 s[4:5], 3, v14
	v_addc_co_u32_e32 v6, vcc, 0, v6, vcc
	v_lshrrev_b32_e32 v11, 2, v11
	s_or_b64 vcc, s[4:5], s[2:3]
	v_addc_co_u32_e32 v11, vcc, 0, v11, vcc
	v_cmp_gt_i32_e32 vcc, 31, v10
	v_cndmask_b32_e32 v6, v0, v6, vcc
	v_cmp_gt_i32_e32 vcc, 31, v12
	v_lshl_or_b32 v2, v2, 9, v0
	v_cndmask_b32_e32 v11, v0, v11, vcc
	v_cmp_eq_u32_e32 vcc, s18, v10
	v_lshrrev_b32_e32 v7, 16, v7
	v_lshl_or_b32 v8, v8, 9, v0
	v_cndmask_b32_e32 v2, v6, v2, vcc
	v_cmp_eq_u32_e32 vcc, s18, v12
	v_lshrrev_b32_e32 v9, 16, v9
	v_cndmask_b32_e32 v6, v11, v8, vcc
	v_and_or_b32 v2, v7, s17, v2
	v_and_or_b32 v6, v9, s17, v6
	v_and_b32_e32 v2, 0xffff, v2
	v_lshl_or_b32 v2, v6, 16, v2
	global_store_dword v[4:5], v2, off
	global_load_dword v2, v31, s[6:7] offset:2592
	v_lshrrev_b32_e32 v6, 16, v3
	v_mov_b32_e32 v8, s9
	v_add_co_u32_e32 v4, vcc, s8, v4
	v_addc_co_u32_e32 v5, vcc, v5, v8, vcc
	s_waitcnt vmcnt(0)
	v_mul_f16_sdwa v7, v6, v2 dst_sel:DWORD dst_unused:UNUSED_PAD src0_sel:DWORD src1_sel:WORD_1
	v_fma_f16 v7, v3, v2, v7
	v_mul_f16_sdwa v3, v3, v2 dst_sel:DWORD dst_unused:UNUSED_PAD src0_sel:DWORD src1_sel:WORD_1
	v_cvt_f32_f16_e32 v7, v7
	v_fma_f16 v2, v2, v6, -v3
	v_cvt_f32_f16_e32 v6, v2
	v_cvt_f64_f32_e32 v[2:3], v7
	v_cvt_f64_f32_e32 v[6:7], v6
	v_mul_f64 v[2:3], v[2:3], s[14:15]
	v_mul_f64 v[6:7], v[6:7], s[14:15]
	v_and_or_b32 v2, v3, s16, v2
	v_cmp_ne_u32_e32 vcc, 0, v2
	v_and_or_b32 v6, v7, s16, v6
	v_lshrrev_b32_e32 v8, 8, v3
	v_bfe_u32 v9, v3, 20, 11
	v_cndmask_b32_e64 v2, 0, 1, vcc
	v_cmp_ne_u32_e32 vcc, 0, v6
	v_lshrrev_b32_e32 v10, 8, v7
	v_bfe_u32 v11, v7, 20, 11
	v_sub_u32_e32 v12, 0x3f1, v9
	v_cndmask_b32_e64 v6, 0, 1, vcc
	v_and_or_b32 v2, v8, s10, v2
	v_sub_u32_e32 v13, 0x3f1, v11
	v_med3_i32 v8, v12, 0, 13
	v_and_or_b32 v6, v10, s10, v6
	v_or_b32_e32 v12, 0x1000, v2
	v_add_u32_e32 v9, 0xfffffc10, v9
	v_med3_i32 v10, v13, 0, 13
	v_cmp_ne_u32_e32 vcc, 0, v2
	v_or_b32_e32 v14, 0x1000, v6
	v_lshrrev_b32_e32 v16, v8, v12
	v_add_u32_e32 v11, 0xfffffc10, v11
	v_lshl_or_b32 v13, v9, 12, v2
	v_cndmask_b32_e64 v2, 0, 1, vcc
	v_cmp_ne_u32_e32 vcc, 0, v6
	v_lshrrev_b32_e32 v17, v10, v14
	v_lshlrev_b32_e32 v8, v8, v16
	v_lshl_or_b32 v15, v11, 12, v6
	v_cndmask_b32_e64 v6, 0, 1, vcc
	v_lshlrev_b32_e32 v10, v10, v17
	v_cmp_ne_u32_e32 vcc, v8, v12
	v_cndmask_b32_e64 v8, 0, 1, vcc
	v_cmp_ne_u32_e32 vcc, v10, v14
	v_cndmask_b32_e64 v10, 0, 1, vcc
	v_or_b32_e32 v8, v16, v8
	v_cmp_gt_i32_e32 vcc, 1, v9
	v_cndmask_b32_e32 v8, v13, v8, vcc
	v_or_b32_e32 v10, v17, v10
	v_cmp_gt_i32_e32 vcc, 1, v11
	v_and_b32_e32 v12, 7, v8
	v_cndmask_b32_e32 v10, v15, v10, vcc
	v_cmp_lt_i32_e32 vcc, 5, v12
	v_cmp_eq_u32_e64 s[0:1], 3, v12
	v_lshrrev_b32_e32 v8, 2, v8
	v_and_b32_e32 v13, 7, v10
	s_or_b64 vcc, s[0:1], vcc
	v_cmp_lt_i32_e64 s[2:3], 5, v13
	v_cmp_eq_u32_e64 s[4:5], 3, v13
	v_addc_co_u32_e32 v8, vcc, 0, v8, vcc
	v_lshrrev_b32_e32 v10, 2, v10
	s_or_b64 vcc, s[4:5], s[2:3]
	v_addc_co_u32_e32 v10, vcc, 0, v10, vcc
	v_cmp_gt_i32_e32 vcc, 31, v9
	v_cndmask_b32_e32 v8, v0, v8, vcc
	v_cmp_gt_i32_e32 vcc, 31, v11
	v_lshl_or_b32 v2, v2, 9, v0
	v_cndmask_b32_e32 v10, v0, v10, vcc
	v_cmp_eq_u32_e32 vcc, s18, v9
	v_lshrrev_b32_e32 v3, 16, v3
	v_lshl_or_b32 v6, v6, 9, v0
	v_cndmask_b32_e32 v2, v8, v2, vcc
	v_cmp_eq_u32_e32 vcc, s18, v11
	v_lshrrev_b32_e32 v7, 16, v7
	v_cndmask_b32_e32 v6, v10, v6, vcc
	v_and_or_b32 v2, v3, s17, v2
	v_and_or_b32 v3, v7, s17, v6
	v_and_b32_e32 v2, 0xffff, v2
	v_lshl_or_b32 v2, v3, 16, v2
	global_store_dword v[4:5], v2, off
	global_load_dword v3, v31, s[6:7] offset:2808
	ds_read2_b32 v[1:2], v1 offset0:190 offset1:244
	s_waitcnt lgkmcnt(0)
	v_lshrrev_b32_e32 v6, 16, v1
	s_waitcnt vmcnt(0)
	v_mul_f16_sdwa v7, v6, v3 dst_sel:DWORD dst_unused:UNUSED_PAD src0_sel:DWORD src1_sel:WORD_1
	v_fma_f16 v7, v1, v3, v7
	v_mul_f16_sdwa v1, v1, v3 dst_sel:DWORD dst_unused:UNUSED_PAD src0_sel:DWORD src1_sel:WORD_1
	v_cvt_f32_f16_e32 v7, v7
	v_fma_f16 v1, v3, v6, -v1
	v_cvt_f32_f16_e32 v1, v1
	v_add_co_u32_e32 v3, vcc, s8, v4
	v_cvt_f64_f32_e32 v[6:7], v7
	v_cvt_f64_f32_e32 v[8:9], v1
	v_mov_b32_e32 v1, s9
	v_addc_co_u32_e32 v4, vcc, v5, v1, vcc
	v_mul_f64 v[6:7], v[6:7], s[14:15]
	v_mul_f64 v[8:9], v[8:9], s[14:15]
	v_and_or_b32 v1, v7, s16, v6
	v_and_or_b32 v8, v9, s16, v8
	v_cmp_ne_u32_e32 vcc, 0, v1
	v_lshrrev_b32_e32 v5, 8, v7
	v_bfe_u32 v6, v7, 20, 11
	v_cndmask_b32_e64 v1, 0, 1, vcc
	v_cmp_ne_u32_e32 vcc, 0, v8
	v_lshrrev_b32_e32 v10, 8, v9
	v_bfe_u32 v11, v9, 20, 11
	v_sub_u32_e32 v12, 0x3f1, v6
	v_cndmask_b32_e64 v8, 0, 1, vcc
	v_and_or_b32 v1, v5, s10, v1
	v_sub_u32_e32 v13, 0x3f1, v11
	v_med3_i32 v5, v12, 0, 13
	v_and_or_b32 v8, v10, s10, v8
	v_or_b32_e32 v12, 0x1000, v1
	v_add_u32_e32 v6, 0xfffffc10, v6
	v_med3_i32 v10, v13, 0, 13
	v_cmp_ne_u32_e32 vcc, 0, v1
	v_or_b32_e32 v14, 0x1000, v8
	v_lshrrev_b32_e32 v16, v5, v12
	v_add_u32_e32 v11, 0xfffffc10, v11
	v_lshl_or_b32 v13, v6, 12, v1
	v_cndmask_b32_e64 v1, 0, 1, vcc
	v_cmp_ne_u32_e32 vcc, 0, v8
	v_lshrrev_b32_e32 v17, v10, v14
	v_lshlrev_b32_e32 v5, v5, v16
	v_lshl_or_b32 v15, v11, 12, v8
	v_cndmask_b32_e64 v8, 0, 1, vcc
	v_lshlrev_b32_e32 v10, v10, v17
	v_cmp_ne_u32_e32 vcc, v5, v12
	v_cndmask_b32_e64 v5, 0, 1, vcc
	v_cmp_ne_u32_e32 vcc, v10, v14
	v_cndmask_b32_e64 v10, 0, 1, vcc
	v_or_b32_e32 v5, v16, v5
	v_cmp_gt_i32_e32 vcc, 1, v6
	v_cndmask_b32_e32 v5, v13, v5, vcc
	v_or_b32_e32 v10, v17, v10
	v_cmp_gt_i32_e32 vcc, 1, v11
	v_and_b32_e32 v12, 7, v5
	v_cndmask_b32_e32 v10, v15, v10, vcc
	v_cmp_lt_i32_e32 vcc, 5, v12
	v_cmp_eq_u32_e64 s[0:1], 3, v12
	v_lshrrev_b32_e32 v5, 2, v5
	v_and_b32_e32 v13, 7, v10
	s_or_b64 vcc, s[0:1], vcc
	v_cmp_lt_i32_e64 s[2:3], 5, v13
	v_cmp_eq_u32_e64 s[4:5], 3, v13
	v_addc_co_u32_e32 v5, vcc, 0, v5, vcc
	v_lshrrev_b32_e32 v10, 2, v10
	s_or_b64 vcc, s[4:5], s[2:3]
	v_addc_co_u32_e32 v10, vcc, 0, v10, vcc
	v_cmp_gt_i32_e32 vcc, 31, v6
	v_cndmask_b32_e32 v5, v0, v5, vcc
	v_cmp_gt_i32_e32 vcc, 31, v11
	v_lshl_or_b32 v1, v1, 9, v0
	v_cndmask_b32_e32 v10, v0, v10, vcc
	v_cmp_eq_u32_e32 vcc, s18, v6
	v_lshrrev_b32_e32 v7, 16, v7
	v_lshl_or_b32 v8, v8, 9, v0
	v_cndmask_b32_e32 v1, v5, v1, vcc
	v_cmp_eq_u32_e32 vcc, s18, v11
	v_lshrrev_b32_e32 v9, 16, v9
	v_cndmask_b32_e32 v5, v10, v8, vcc
	v_and_or_b32 v1, v7, s17, v1
	v_and_or_b32 v5, v9, s17, v5
	v_and_b32_e32 v1, 0xffff, v1
	v_lshl_or_b32 v1, v5, 16, v1
	global_store_dword v[3:4], v1, off
	global_load_dword v1, v31, s[6:7] offset:3024
	v_lshrrev_b32_e32 v5, 16, v2
	v_mov_b32_e32 v7, s9
	v_add_co_u32_e32 v3, vcc, s8, v3
	v_addc_co_u32_e32 v4, vcc, v4, v7, vcc
	s_waitcnt vmcnt(0)
	v_mul_f16_sdwa v6, v5, v1 dst_sel:DWORD dst_unused:UNUSED_PAD src0_sel:DWORD src1_sel:WORD_1
	v_fma_f16 v6, v2, v1, v6
	v_mul_f16_sdwa v2, v2, v1 dst_sel:DWORD dst_unused:UNUSED_PAD src0_sel:DWORD src1_sel:WORD_1
	v_cvt_f32_f16_e32 v6, v6
	v_fma_f16 v1, v1, v5, -v2
	v_cvt_f32_f16_e32 v5, v1
	v_cvt_f64_f32_e32 v[1:2], v6
	v_cvt_f64_f32_e32 v[5:6], v5
	v_mul_f64 v[1:2], v[1:2], s[14:15]
	v_mul_f64 v[5:6], v[5:6], s[14:15]
	v_and_or_b32 v1, v2, s16, v1
	v_cmp_ne_u32_e32 vcc, 0, v1
	v_and_or_b32 v5, v6, s16, v5
	v_lshrrev_b32_e32 v7, 8, v2
	v_bfe_u32 v8, v2, 20, 11
	v_cndmask_b32_e64 v1, 0, 1, vcc
	v_cmp_ne_u32_e32 vcc, 0, v5
	v_lshrrev_b32_e32 v9, 8, v6
	v_bfe_u32 v10, v6, 20, 11
	v_sub_u32_e32 v11, 0x3f1, v8
	v_cndmask_b32_e64 v5, 0, 1, vcc
	v_and_or_b32 v1, v7, s10, v1
	v_sub_u32_e32 v12, 0x3f1, v10
	v_med3_i32 v7, v11, 0, 13
	v_and_or_b32 v5, v9, s10, v5
	v_or_b32_e32 v11, 0x1000, v1
	v_add_u32_e32 v8, 0xfffffc10, v8
	v_med3_i32 v9, v12, 0, 13
	v_cmp_ne_u32_e32 vcc, 0, v1
	v_or_b32_e32 v13, 0x1000, v5
	v_lshrrev_b32_e32 v15, v7, v11
	v_add_u32_e32 v10, 0xfffffc10, v10
	v_lshl_or_b32 v12, v8, 12, v1
	v_cndmask_b32_e64 v1, 0, 1, vcc
	v_cmp_ne_u32_e32 vcc, 0, v5
	v_lshrrev_b32_e32 v16, v9, v13
	v_lshlrev_b32_e32 v7, v7, v15
	v_lshl_or_b32 v14, v10, 12, v5
	v_cndmask_b32_e64 v5, 0, 1, vcc
	v_lshlrev_b32_e32 v9, v9, v16
	v_cmp_ne_u32_e32 vcc, v7, v11
	v_cndmask_b32_e64 v7, 0, 1, vcc
	v_cmp_ne_u32_e32 vcc, v9, v13
	v_cndmask_b32_e64 v9, 0, 1, vcc
	v_or_b32_e32 v7, v15, v7
	v_cmp_gt_i32_e32 vcc, 1, v8
	v_cndmask_b32_e32 v7, v12, v7, vcc
	v_or_b32_e32 v9, v16, v9
	v_cmp_gt_i32_e32 vcc, 1, v10
	v_and_b32_e32 v11, 7, v7
	v_cndmask_b32_e32 v9, v14, v9, vcc
	v_cmp_lt_i32_e32 vcc, 5, v11
	v_cmp_eq_u32_e64 s[0:1], 3, v11
	v_lshrrev_b32_e32 v7, 2, v7
	v_and_b32_e32 v12, 7, v9
	s_or_b64 vcc, s[0:1], vcc
	v_cmp_lt_i32_e64 s[2:3], 5, v12
	v_cmp_eq_u32_e64 s[4:5], 3, v12
	v_addc_co_u32_e32 v7, vcc, 0, v7, vcc
	v_lshrrev_b32_e32 v9, 2, v9
	s_or_b64 vcc, s[4:5], s[2:3]
	v_addc_co_u32_e32 v9, vcc, 0, v9, vcc
	v_cmp_gt_i32_e32 vcc, 31, v8
	v_cndmask_b32_e32 v7, v0, v7, vcc
	v_cmp_gt_i32_e32 vcc, 31, v10
	v_lshl_or_b32 v1, v1, 9, v0
	v_cndmask_b32_e32 v9, v0, v9, vcc
	v_cmp_eq_u32_e32 vcc, s18, v8
	v_lshrrev_b32_e32 v2, 16, v2
	v_lshl_or_b32 v5, v5, 9, v0
	v_cndmask_b32_e32 v1, v7, v1, vcc
	v_cmp_eq_u32_e32 vcc, s18, v10
	v_lshrrev_b32_e32 v6, 16, v6
	v_cndmask_b32_e32 v5, v9, v5, vcc
	v_and_or_b32 v1, v2, s17, v1
	v_and_or_b32 v2, v6, s17, v5
	v_and_b32_e32 v1, 0xffff, v1
	v_lshl_or_b32 v1, v2, 16, v1
	global_store_dword v[3:4], v1, off
	global_load_dword v5, v31, s[6:7] offset:3240
	v_add_u32_e32 v1, 0xc00, v31
	ds_read2_b32 v[1:2], v1 offset0:42 offset1:96
	v_add_co_u32_e32 v3, vcc, s8, v3
	s_waitcnt lgkmcnt(0)
	v_lshrrev_b32_e32 v6, 16, v1
	s_waitcnt vmcnt(0)
	v_mul_f16_sdwa v7, v6, v5 dst_sel:DWORD dst_unused:UNUSED_PAD src0_sel:DWORD src1_sel:WORD_1
	v_fma_f16 v7, v1, v5, v7
	v_mul_f16_sdwa v1, v1, v5 dst_sel:DWORD dst_unused:UNUSED_PAD src0_sel:DWORD src1_sel:WORD_1
	v_cvt_f32_f16_e32 v7, v7
	v_fma_f16 v1, v5, v6, -v1
	v_cvt_f32_f16_e32 v1, v1
	v_cvt_f64_f32_e32 v[5:6], v7
	v_cvt_f64_f32_e32 v[7:8], v1
	v_mov_b32_e32 v1, s9
	v_mul_f64 v[5:6], v[5:6], s[14:15]
	v_addc_co_u32_e32 v4, vcc, v4, v1, vcc
	v_mul_f64 v[7:8], v[7:8], s[14:15]
	v_and_or_b32 v1, v6, s16, v5
	v_cmp_ne_u32_e32 vcc, 0, v1
	v_lshrrev_b32_e32 v5, 8, v6
	v_and_or_b32 v7, v8, s16, v7
	v_bfe_u32 v9, v6, 20, 11
	v_cndmask_b32_e64 v1, 0, 1, vcc
	v_cmp_ne_u32_e32 vcc, 0, v7
	v_lshrrev_b32_e32 v10, 8, v8
	v_bfe_u32 v11, v8, 20, 11
	v_sub_u32_e32 v12, 0x3f1, v9
	v_cndmask_b32_e64 v7, 0, 1, vcc
	v_and_or_b32 v1, v5, s10, v1
	v_sub_u32_e32 v13, 0x3f1, v11
	v_med3_i32 v5, v12, 0, 13
	v_and_or_b32 v7, v10, s10, v7
	v_or_b32_e32 v12, 0x1000, v1
	v_add_u32_e32 v9, 0xfffffc10, v9
	v_med3_i32 v10, v13, 0, 13
	v_cmp_ne_u32_e32 vcc, 0, v1
	v_or_b32_e32 v14, 0x1000, v7
	v_lshrrev_b32_e32 v16, v5, v12
	v_add_u32_e32 v11, 0xfffffc10, v11
	v_lshl_or_b32 v13, v9, 12, v1
	v_cndmask_b32_e64 v1, 0, 1, vcc
	v_cmp_ne_u32_e32 vcc, 0, v7
	v_lshrrev_b32_e32 v17, v10, v14
	v_lshlrev_b32_e32 v5, v5, v16
	v_lshl_or_b32 v15, v11, 12, v7
	v_cndmask_b32_e64 v7, 0, 1, vcc
	v_lshlrev_b32_e32 v10, v10, v17
	v_cmp_ne_u32_e32 vcc, v5, v12
	v_cndmask_b32_e64 v5, 0, 1, vcc
	v_cmp_ne_u32_e32 vcc, v10, v14
	v_cndmask_b32_e64 v10, 0, 1, vcc
	v_or_b32_e32 v5, v16, v5
	v_cmp_gt_i32_e32 vcc, 1, v9
	v_cndmask_b32_e32 v5, v13, v5, vcc
	v_or_b32_e32 v10, v17, v10
	v_cmp_gt_i32_e32 vcc, 1, v11
	v_and_b32_e32 v12, 7, v5
	v_cndmask_b32_e32 v10, v15, v10, vcc
	v_cmp_lt_i32_e32 vcc, 5, v12
	v_cmp_eq_u32_e64 s[0:1], 3, v12
	v_lshrrev_b32_e32 v5, 2, v5
	v_and_b32_e32 v13, 7, v10
	s_or_b64 vcc, s[0:1], vcc
	v_cmp_lt_i32_e64 s[2:3], 5, v13
	v_cmp_eq_u32_e64 s[4:5], 3, v13
	v_addc_co_u32_e32 v5, vcc, 0, v5, vcc
	v_lshrrev_b32_e32 v10, 2, v10
	s_or_b64 vcc, s[4:5], s[2:3]
	v_addc_co_u32_e32 v10, vcc, 0, v10, vcc
	v_cmp_gt_i32_e32 vcc, 31, v9
	v_cndmask_b32_e32 v5, v0, v5, vcc
	v_cmp_gt_i32_e32 vcc, 31, v11
	v_lshl_or_b32 v1, v1, 9, v0
	v_cndmask_b32_e32 v10, v0, v10, vcc
	v_cmp_eq_u32_e32 vcc, s18, v9
	v_lshrrev_b32_e32 v6, 16, v6
	v_lshl_or_b32 v7, v7, 9, v0
	v_cndmask_b32_e32 v1, v5, v1, vcc
	v_cmp_eq_u32_e32 vcc, s18, v11
	v_lshrrev_b32_e32 v8, 16, v8
	v_cndmask_b32_e32 v5, v10, v7, vcc
	v_and_or_b32 v1, v6, s17, v1
	v_and_or_b32 v5, v8, s17, v5
	v_and_b32_e32 v1, 0xffff, v1
	v_lshl_or_b32 v1, v5, 16, v1
	global_store_dword v[3:4], v1, off
	global_load_dword v1, v31, s[6:7] offset:3456
	v_lshrrev_b32_e32 v5, 16, v2
	v_mov_b32_e32 v7, s9
	s_waitcnt vmcnt(0)
	v_mul_f16_sdwa v6, v5, v1 dst_sel:DWORD dst_unused:UNUSED_PAD src0_sel:DWORD src1_sel:WORD_1
	v_fma_f16 v6, v2, v1, v6
	v_mul_f16_sdwa v2, v2, v1 dst_sel:DWORD dst_unused:UNUSED_PAD src0_sel:DWORD src1_sel:WORD_1
	v_cvt_f32_f16_e32 v6, v6
	v_fma_f16 v1, v1, v5, -v2
	v_cvt_f32_f16_e32 v5, v1
	v_cvt_f64_f32_e32 v[1:2], v6
	v_cvt_f64_f32_e32 v[5:6], v5
	v_mul_f64 v[1:2], v[1:2], s[14:15]
	v_mul_f64 v[5:6], v[5:6], s[14:15]
	v_and_or_b32 v1, v2, s16, v1
	v_cmp_ne_u32_e32 vcc, 0, v1
	v_and_or_b32 v5, v6, s16, v5
	v_lshrrev_b32_e32 v8, 8, v2
	v_bfe_u32 v9, v2, 20, 11
	v_cndmask_b32_e64 v1, 0, 1, vcc
	v_cmp_ne_u32_e32 vcc, 0, v5
	v_lshrrev_b32_e32 v10, 8, v6
	v_bfe_u32 v11, v6, 20, 11
	v_sub_u32_e32 v12, 0x3f1, v9
	v_cndmask_b32_e64 v5, 0, 1, vcc
	v_and_or_b32 v1, v8, s10, v1
	v_sub_u32_e32 v13, 0x3f1, v11
	v_med3_i32 v8, v12, 0, 13
	v_and_or_b32 v5, v10, s10, v5
	v_or_b32_e32 v12, 0x1000, v1
	v_add_u32_e32 v9, 0xfffffc10, v9
	v_med3_i32 v10, v13, 0, 13
	v_cmp_ne_u32_e32 vcc, 0, v1
	v_or_b32_e32 v14, 0x1000, v5
	v_lshrrev_b32_e32 v16, v8, v12
	v_add_u32_e32 v11, 0xfffffc10, v11
	v_lshl_or_b32 v13, v9, 12, v1
	v_cndmask_b32_e64 v1, 0, 1, vcc
	v_cmp_ne_u32_e32 vcc, 0, v5
	v_lshrrev_b32_e32 v17, v10, v14
	v_lshlrev_b32_e32 v8, v8, v16
	v_lshl_or_b32 v15, v11, 12, v5
	v_cndmask_b32_e64 v5, 0, 1, vcc
	v_lshlrev_b32_e32 v10, v10, v17
	v_cmp_ne_u32_e32 vcc, v8, v12
	v_cndmask_b32_e64 v8, 0, 1, vcc
	v_cmp_ne_u32_e32 vcc, v10, v14
	v_cndmask_b32_e64 v10, 0, 1, vcc
	v_or_b32_e32 v8, v16, v8
	v_cmp_gt_i32_e32 vcc, 1, v9
	v_cndmask_b32_e32 v8, v13, v8, vcc
	v_or_b32_e32 v10, v17, v10
	v_cmp_gt_i32_e32 vcc, 1, v11
	v_and_b32_e32 v12, 7, v8
	v_cndmask_b32_e32 v10, v15, v10, vcc
	v_cmp_lt_i32_e32 vcc, 5, v12
	v_cmp_eq_u32_e64 s[0:1], 3, v12
	v_lshrrev_b32_e32 v8, 2, v8
	v_and_b32_e32 v13, 7, v10
	s_or_b64 vcc, s[0:1], vcc
	v_cmp_lt_i32_e64 s[2:3], 5, v13
	v_cmp_eq_u32_e64 s[4:5], 3, v13
	v_addc_co_u32_e32 v8, vcc, 0, v8, vcc
	v_lshrrev_b32_e32 v10, 2, v10
	s_or_b64 vcc, s[4:5], s[2:3]
	v_addc_co_u32_e32 v10, vcc, 0, v10, vcc
	v_cmp_gt_i32_e32 vcc, 31, v9
	v_cndmask_b32_e32 v8, v0, v8, vcc
	v_cmp_gt_i32_e32 vcc, 31, v11
	v_lshl_or_b32 v1, v1, 9, v0
	v_lshl_or_b32 v5, v5, 9, v0
	v_cndmask_b32_e32 v0, v0, v10, vcc
	v_cmp_eq_u32_e32 vcc, s18, v9
	v_lshrrev_b32_e32 v2, 16, v2
	v_cndmask_b32_e32 v1, v8, v1, vcc
	v_cmp_eq_u32_e32 vcc, s18, v11
	v_lshrrev_b32_e32 v6, 16, v6
	v_cndmask_b32_e32 v0, v0, v5, vcc
	v_and_or_b32 v1, v2, s17, v1
	v_and_or_b32 v0, v6, s17, v0
	v_and_b32_e32 v1, 0xffff, v1
	v_lshl_or_b32 v2, v0, 16, v1
	v_add_co_u32_e32 v0, vcc, s8, v3
	v_addc_co_u32_e32 v1, vcc, v4, v7, vcc
	global_store_dword v[0:1], v2, off
.LBB0_23:
	s_endpgm
	.section	.rodata,"a",@progbits
	.p2align	6, 0x0
	.amdhsa_kernel bluestein_single_back_len918_dim1_half_op_CI_CI
		.amdhsa_group_segment_fixed_size 3672
		.amdhsa_private_segment_fixed_size 0
		.amdhsa_kernarg_size 104
		.amdhsa_user_sgpr_count 6
		.amdhsa_user_sgpr_private_segment_buffer 1
		.amdhsa_user_sgpr_dispatch_ptr 0
		.amdhsa_user_sgpr_queue_ptr 0
		.amdhsa_user_sgpr_kernarg_segment_ptr 1
		.amdhsa_user_sgpr_dispatch_id 0
		.amdhsa_user_sgpr_flat_scratch_init 0
		.amdhsa_user_sgpr_private_segment_size 0
		.amdhsa_uses_dynamic_stack 0
		.amdhsa_system_sgpr_private_segment_wavefront_offset 0
		.amdhsa_system_sgpr_workgroup_id_x 1
		.amdhsa_system_sgpr_workgroup_id_y 0
		.amdhsa_system_sgpr_workgroup_id_z 0
		.amdhsa_system_sgpr_workgroup_info 0
		.amdhsa_system_vgpr_workitem_id 0
		.amdhsa_next_free_vgpr 254
		.amdhsa_next_free_sgpr 39
		.amdhsa_reserve_vcc 1
		.amdhsa_reserve_flat_scratch 0
		.amdhsa_float_round_mode_32 0
		.amdhsa_float_round_mode_16_64 0
		.amdhsa_float_denorm_mode_32 3
		.amdhsa_float_denorm_mode_16_64 3
		.amdhsa_dx10_clamp 1
		.amdhsa_ieee_mode 1
		.amdhsa_fp16_overflow 0
		.amdhsa_exception_fp_ieee_invalid_op 0
		.amdhsa_exception_fp_denorm_src 0
		.amdhsa_exception_fp_ieee_div_zero 0
		.amdhsa_exception_fp_ieee_overflow 0
		.amdhsa_exception_fp_ieee_underflow 0
		.amdhsa_exception_fp_ieee_inexact 0
		.amdhsa_exception_int_div_zero 0
	.end_amdhsa_kernel
	.text
.Lfunc_end0:
	.size	bluestein_single_back_len918_dim1_half_op_CI_CI, .Lfunc_end0-bluestein_single_back_len918_dim1_half_op_CI_CI
                                        ; -- End function
	.section	.AMDGPU.csdata,"",@progbits
; Kernel info:
; codeLenInByte = 27328
; NumSgprs: 43
; NumVgprs: 254
; ScratchSize: 0
; MemoryBound: 0
; FloatMode: 240
; IeeeMode: 1
; LDSByteSize: 3672 bytes/workgroup (compile time only)
; SGPRBlocks: 5
; VGPRBlocks: 63
; NumSGPRsForWavesPerEU: 43
; NumVGPRsForWavesPerEU: 254
; Occupancy: 1
; WaveLimiterHint : 1
; COMPUTE_PGM_RSRC2:SCRATCH_EN: 0
; COMPUTE_PGM_RSRC2:USER_SGPR: 6
; COMPUTE_PGM_RSRC2:TRAP_HANDLER: 0
; COMPUTE_PGM_RSRC2:TGID_X_EN: 1
; COMPUTE_PGM_RSRC2:TGID_Y_EN: 0
; COMPUTE_PGM_RSRC2:TGID_Z_EN: 0
; COMPUTE_PGM_RSRC2:TIDIG_COMP_CNT: 0
	.type	__hip_cuid_22415e9b7be8c6b,@object ; @__hip_cuid_22415e9b7be8c6b
	.section	.bss,"aw",@nobits
	.globl	__hip_cuid_22415e9b7be8c6b
__hip_cuid_22415e9b7be8c6b:
	.byte	0                               ; 0x0
	.size	__hip_cuid_22415e9b7be8c6b, 1

	.ident	"AMD clang version 19.0.0git (https://github.com/RadeonOpenCompute/llvm-project roc-6.4.0 25133 c7fe45cf4b819c5991fe208aaa96edf142730f1d)"
	.section	".note.GNU-stack","",@progbits
	.addrsig
	.addrsig_sym __hip_cuid_22415e9b7be8c6b
	.amdgpu_metadata
---
amdhsa.kernels:
  - .args:
      - .actual_access:  read_only
        .address_space:  global
        .offset:         0
        .size:           8
        .value_kind:     global_buffer
      - .actual_access:  read_only
        .address_space:  global
        .offset:         8
        .size:           8
        .value_kind:     global_buffer
      - .actual_access:  read_only
        .address_space:  global
        .offset:         16
        .size:           8
        .value_kind:     global_buffer
      - .actual_access:  read_only
        .address_space:  global
        .offset:         24
        .size:           8
        .value_kind:     global_buffer
      - .actual_access:  read_only
        .address_space:  global
        .offset:         32
        .size:           8
        .value_kind:     global_buffer
      - .offset:         40
        .size:           8
        .value_kind:     by_value
      - .address_space:  global
        .offset:         48
        .size:           8
        .value_kind:     global_buffer
      - .address_space:  global
        .offset:         56
        .size:           8
        .value_kind:     global_buffer
      - .address_space:  global
        .offset:         64
        .size:           8
        .value_kind:     global_buffer
      - .address_space:  global
        .offset:         72
        .size:           8
        .value_kind:     global_buffer
      - .offset:         80
        .size:           4
        .value_kind:     by_value
      - .address_space:  global
        .offset:         88
        .size:           8
        .value_kind:     global_buffer
      - .address_space:  global
        .offset:         96
        .size:           8
        .value_kind:     global_buffer
    .group_segment_fixed_size: 3672
    .kernarg_segment_align: 8
    .kernarg_segment_size: 104
    .language:       OpenCL C
    .language_version:
      - 2
      - 0
    .max_flat_workgroup_size: 102
    .name:           bluestein_single_back_len918_dim1_half_op_CI_CI
    .private_segment_fixed_size: 0
    .sgpr_count:     43
    .sgpr_spill_count: 0
    .symbol:         bluestein_single_back_len918_dim1_half_op_CI_CI.kd
    .uniform_work_group_size: 1
    .uses_dynamic_stack: false
    .vgpr_count:     254
    .vgpr_spill_count: 0
    .wavefront_size: 64
amdhsa.target:   amdgcn-amd-amdhsa--gfx906
amdhsa.version:
  - 1
  - 2
...

	.end_amdgpu_metadata
